;; amdgpu-corpus repo=ROCm/hipCUB kind=compiled arch=gfx1100 opt=O3
	.text
	.amdgcn_target "amdgcn-amd-amdhsa--gfx1100"
	.amdhsa_code_object_version 6
	.section	.text._Z6kernelI13subtract_leftLj256ELj1ELb0EJPiS1_jEEvDpT3_,"axG",@progbits,_Z6kernelI13subtract_leftLj256ELj1ELb0EJPiS1_jEEvDpT3_,comdat
	.protected	_Z6kernelI13subtract_leftLj256ELj1ELb0EJPiS1_jEEvDpT3_ ; -- Begin function _Z6kernelI13subtract_leftLj256ELj1ELb0EJPiS1_jEEvDpT3_
	.globl	_Z6kernelI13subtract_leftLj256ELj1ELb0EJPiS1_jEEvDpT3_
	.p2align	8
	.type	_Z6kernelI13subtract_leftLj256ELj1ELb0EJPiS1_jEEvDpT3_,@function
_Z6kernelI13subtract_leftLj256ELj1ELb0EJPiS1_jEEvDpT3_: ; @_Z6kernelI13subtract_leftLj256ELj1ELb0EJPiS1_jEEvDpT3_
; %bb.0:
	s_load_b128 s[4:7], s[0:1], 0x0
	s_lshl_b32 s2, s15, 8
	s_mov_b32 s3, 0
	v_lshlrev_b32_e32 v1, 2, v0
	s_lshl_b64 s[2:3], s[2:3], 2
	s_load_b32 s0, s[0:1], 0x10
	s_waitcnt lgkmcnt(0)
	s_add_u32 s4, s4, s2
	s_addc_u32 s5, s5, s3
	global_load_b32 v2, v1, s[4:5]
	s_cmp_eq_u32 s0, 0
	s_cbranch_scc1 .LBB0_5
; %bb.1:
	v_cmp_ne_u32_e32 vcc_lo, 0, v0
	v_add_nc_u32_e32 v0, -4, v1
	s_branch .LBB0_3
.LBB0_2:                                ;   in Loop: Header=BB0_3 Depth=1
	s_or_b32 exec_lo, exec_lo, s1
	s_delay_alu instid0(VALU_DEP_1) | instskip(SKIP_1) | instid1(SALU_CYCLE_1)
	v_add_nc_u32_e32 v2, v3, v2
	s_add_i32 s0, s0, -1
	s_cmp_lg_u32 s0, 0
	s_barrier
	buffer_gl0_inv
	s_cbranch_scc0 .LBB0_5
.LBB0_3:                                ; =>This Inner Loop Header: Depth=1
	s_waitcnt vmcnt(0)
	v_mov_b32_e32 v3, v2
	ds_store_b32 v1, v2
	s_waitcnt lgkmcnt(0)
	s_barrier
	buffer_gl0_inv
	s_and_saveexec_b32 s1, vcc_lo
	s_cbranch_execz .LBB0_2
; %bb.4:                                ;   in Loop: Header=BB0_3 Depth=1
	ds_load_b32 v3, v0
	s_waitcnt lgkmcnt(0)
	v_sub_nc_u32_e32 v3, v2, v3
	s_branch .LBB0_2
.LBB0_5:
	s_add_u32 s0, s6, s2
	s_addc_u32 s1, s7, s3
	s_waitcnt vmcnt(0)
	global_store_b32 v1, v2, s[0:1]
	s_nop 0
	s_sendmsg sendmsg(MSG_DEALLOC_VGPRS)
	s_endpgm
	.section	.rodata,"a",@progbits
	.p2align	6, 0x0
	.amdhsa_kernel _Z6kernelI13subtract_leftLj256ELj1ELb0EJPiS1_jEEvDpT3_
		.amdhsa_group_segment_fixed_size 2048
		.amdhsa_private_segment_fixed_size 0
		.amdhsa_kernarg_size 20
		.amdhsa_user_sgpr_count 15
		.amdhsa_user_sgpr_dispatch_ptr 0
		.amdhsa_user_sgpr_queue_ptr 0
		.amdhsa_user_sgpr_kernarg_segment_ptr 1
		.amdhsa_user_sgpr_dispatch_id 0
		.amdhsa_user_sgpr_private_segment_size 0
		.amdhsa_wavefront_size32 1
		.amdhsa_uses_dynamic_stack 0
		.amdhsa_enable_private_segment 0
		.amdhsa_system_sgpr_workgroup_id_x 1
		.amdhsa_system_sgpr_workgroup_id_y 0
		.amdhsa_system_sgpr_workgroup_id_z 0
		.amdhsa_system_sgpr_workgroup_info 0
		.amdhsa_system_vgpr_workitem_id 0
		.amdhsa_next_free_vgpr 4
		.amdhsa_next_free_sgpr 16
		.amdhsa_reserve_vcc 1
		.amdhsa_float_round_mode_32 0
		.amdhsa_float_round_mode_16_64 0
		.amdhsa_float_denorm_mode_32 3
		.amdhsa_float_denorm_mode_16_64 3
		.amdhsa_dx10_clamp 1
		.amdhsa_ieee_mode 1
		.amdhsa_fp16_overflow 0
		.amdhsa_workgroup_processor_mode 1
		.amdhsa_memory_ordered 1
		.amdhsa_forward_progress 0
		.amdhsa_shared_vgpr_count 0
		.amdhsa_exception_fp_ieee_invalid_op 0
		.amdhsa_exception_fp_denorm_src 0
		.amdhsa_exception_fp_ieee_div_zero 0
		.amdhsa_exception_fp_ieee_overflow 0
		.amdhsa_exception_fp_ieee_underflow 0
		.amdhsa_exception_fp_ieee_inexact 0
		.amdhsa_exception_int_div_zero 0
	.end_amdhsa_kernel
	.section	.text._Z6kernelI13subtract_leftLj256ELj1ELb0EJPiS1_jEEvDpT3_,"axG",@progbits,_Z6kernelI13subtract_leftLj256ELj1ELb0EJPiS1_jEEvDpT3_,comdat
.Lfunc_end0:
	.size	_Z6kernelI13subtract_leftLj256ELj1ELb0EJPiS1_jEEvDpT3_, .Lfunc_end0-_Z6kernelI13subtract_leftLj256ELj1ELb0EJPiS1_jEEvDpT3_
                                        ; -- End function
	.section	.AMDGPU.csdata,"",@progbits
; Kernel info:
; codeLenInByte = 200
; NumSgprs: 18
; NumVgprs: 4
; ScratchSize: 0
; MemoryBound: 0
; FloatMode: 240
; IeeeMode: 1
; LDSByteSize: 2048 bytes/workgroup (compile time only)
; SGPRBlocks: 2
; VGPRBlocks: 0
; NumSGPRsForWavesPerEU: 18
; NumVGPRsForWavesPerEU: 4
; Occupancy: 16
; WaveLimiterHint : 0
; COMPUTE_PGM_RSRC2:SCRATCH_EN: 0
; COMPUTE_PGM_RSRC2:USER_SGPR: 15
; COMPUTE_PGM_RSRC2:TRAP_HANDLER: 0
; COMPUTE_PGM_RSRC2:TGID_X_EN: 1
; COMPUTE_PGM_RSRC2:TGID_Y_EN: 0
; COMPUTE_PGM_RSRC2:TGID_Z_EN: 0
; COMPUTE_PGM_RSRC2:TIDIG_COMP_CNT: 0
	.section	.text._Z6kernelI13subtract_leftLj256ELj3ELb0EJPiS1_jEEvDpT3_,"axG",@progbits,_Z6kernelI13subtract_leftLj256ELj3ELb0EJPiS1_jEEvDpT3_,comdat
	.protected	_Z6kernelI13subtract_leftLj256ELj3ELb0EJPiS1_jEEvDpT3_ ; -- Begin function _Z6kernelI13subtract_leftLj256ELj3ELb0EJPiS1_jEEvDpT3_
	.globl	_Z6kernelI13subtract_leftLj256ELj3ELb0EJPiS1_jEEvDpT3_
	.p2align	8
	.type	_Z6kernelI13subtract_leftLj256ELj3ELb0EJPiS1_jEEvDpT3_,@function
_Z6kernelI13subtract_leftLj256ELj3ELb0EJPiS1_jEEvDpT3_: ; @_Z6kernelI13subtract_leftLj256ELj3ELb0EJPiS1_jEEvDpT3_
; %bb.0:
	s_load_b128 s[4:7], s[0:1], 0x0
	s_mov_b32 s3, 0
	s_mul_i32 s2, s15, 0x300
	v_lshlrev_b32_e32 v1, 2, v0
	s_lshl_b64 s[2:3], s[2:3], 2
	s_load_b32 s0, s[0:1], 0x10
	s_waitcnt lgkmcnt(0)
	s_add_u32 s4, s4, s2
	s_addc_u32 s5, s5, s3
	s_clause 0x2
	global_load_b32 v4, v1, s[4:5]
	global_load_b32 v3, v1, s[4:5] offset:1024
	global_load_b32 v2, v1, s[4:5] offset:2048
	s_cmp_eq_u32 s0, 0
	s_cbranch_scc1 .LBB1_5
; %bb.1:
	v_cmp_ne_u32_e32 vcc_lo, 0, v0
	v_add_nc_u32_e32 v0, -4, v1
	s_branch .LBB1_3
	.p2align	6
.LBB1_2:                                ;   in Loop: Header=BB1_3 Depth=1
	s_or_b32 exec_lo, exec_lo, s1
	v_sub_nc_u32_e32 v6, v3, v4
	v_sub_nc_u32_e32 v7, v2, v3
	v_add_nc_u32_e32 v4, v5, v4
	s_add_i32 s0, s0, -1
	s_delay_alu instid0(VALU_DEP_3) | instskip(NEXT) | instid1(VALU_DEP_3)
	v_add_nc_u32_e32 v3, v6, v3
	v_add_nc_u32_e32 v2, v7, v2
	s_cmp_lg_u32 s0, 0
	s_barrier
	buffer_gl0_inv
	s_cbranch_scc0 .LBB1_5
.LBB1_3:                                ; =>This Inner Loop Header: Depth=1
	s_waitcnt vmcnt(2)
	v_mov_b32_e32 v5, v4
	s_waitcnt vmcnt(0)
	ds_store_b32 v1, v2
	s_waitcnt lgkmcnt(0)
	s_barrier
	buffer_gl0_inv
	s_and_saveexec_b32 s1, vcc_lo
	s_cbranch_execz .LBB1_2
; %bb.4:                                ;   in Loop: Header=BB1_3 Depth=1
	ds_load_b32 v5, v0
	s_waitcnt lgkmcnt(0)
	v_sub_nc_u32_e32 v5, v4, v5
	s_branch .LBB1_2
.LBB1_5:
	s_add_u32 s0, s6, s2
	s_addc_u32 s1, s7, s3
	s_waitcnt vmcnt(2)
	global_store_b32 v1, v4, s[0:1]
	s_waitcnt vmcnt(1)
	global_store_b32 v1, v3, s[0:1] offset:1024
	s_waitcnt vmcnt(0)
	global_store_b32 v1, v2, s[0:1] offset:2048
	s_nop 0
	s_sendmsg sendmsg(MSG_DEALLOC_VGPRS)
	s_endpgm
	.section	.rodata,"a",@progbits
	.p2align	6, 0x0
	.amdhsa_kernel _Z6kernelI13subtract_leftLj256ELj3ELb0EJPiS1_jEEvDpT3_
		.amdhsa_group_segment_fixed_size 2048
		.amdhsa_private_segment_fixed_size 0
		.amdhsa_kernarg_size 20
		.amdhsa_user_sgpr_count 15
		.amdhsa_user_sgpr_dispatch_ptr 0
		.amdhsa_user_sgpr_queue_ptr 0
		.amdhsa_user_sgpr_kernarg_segment_ptr 1
		.amdhsa_user_sgpr_dispatch_id 0
		.amdhsa_user_sgpr_private_segment_size 0
		.amdhsa_wavefront_size32 1
		.amdhsa_uses_dynamic_stack 0
		.amdhsa_enable_private_segment 0
		.amdhsa_system_sgpr_workgroup_id_x 1
		.amdhsa_system_sgpr_workgroup_id_y 0
		.amdhsa_system_sgpr_workgroup_id_z 0
		.amdhsa_system_sgpr_workgroup_info 0
		.amdhsa_system_vgpr_workitem_id 0
		.amdhsa_next_free_vgpr 8
		.amdhsa_next_free_sgpr 16
		.amdhsa_reserve_vcc 1
		.amdhsa_float_round_mode_32 0
		.amdhsa_float_round_mode_16_64 0
		.amdhsa_float_denorm_mode_32 3
		.amdhsa_float_denorm_mode_16_64 3
		.amdhsa_dx10_clamp 1
		.amdhsa_ieee_mode 1
		.amdhsa_fp16_overflow 0
		.amdhsa_workgroup_processor_mode 1
		.amdhsa_memory_ordered 1
		.amdhsa_forward_progress 0
		.amdhsa_shared_vgpr_count 0
		.amdhsa_exception_fp_ieee_invalid_op 0
		.amdhsa_exception_fp_denorm_src 0
		.amdhsa_exception_fp_ieee_div_zero 0
		.amdhsa_exception_fp_ieee_overflow 0
		.amdhsa_exception_fp_ieee_underflow 0
		.amdhsa_exception_fp_ieee_inexact 0
		.amdhsa_exception_int_div_zero 0
	.end_amdhsa_kernel
	.section	.text._Z6kernelI13subtract_leftLj256ELj3ELb0EJPiS1_jEEvDpT3_,"axG",@progbits,_Z6kernelI13subtract_leftLj256ELj3ELb0EJPiS1_jEEvDpT3_,comdat
.Lfunc_end1:
	.size	_Z6kernelI13subtract_leftLj256ELj3ELb0EJPiS1_jEEvDpT3_, .Lfunc_end1-_Z6kernelI13subtract_leftLj256ELj3ELb0EJPiS1_jEEvDpT3_
                                        ; -- End function
	.section	.AMDGPU.csdata,"",@progbits
; Kernel info:
; codeLenInByte = 268
; NumSgprs: 18
; NumVgprs: 8
; ScratchSize: 0
; MemoryBound: 0
; FloatMode: 240
; IeeeMode: 1
; LDSByteSize: 2048 bytes/workgroup (compile time only)
; SGPRBlocks: 2
; VGPRBlocks: 0
; NumSGPRsForWavesPerEU: 18
; NumVGPRsForWavesPerEU: 8
; Occupancy: 16
; WaveLimiterHint : 1
; COMPUTE_PGM_RSRC2:SCRATCH_EN: 0
; COMPUTE_PGM_RSRC2:USER_SGPR: 15
; COMPUTE_PGM_RSRC2:TRAP_HANDLER: 0
; COMPUTE_PGM_RSRC2:TGID_X_EN: 1
; COMPUTE_PGM_RSRC2:TGID_Y_EN: 0
; COMPUTE_PGM_RSRC2:TGID_Z_EN: 0
; COMPUTE_PGM_RSRC2:TIDIG_COMP_CNT: 0
	.section	.text._Z6kernelI13subtract_leftLj256ELj4ELb0EJPiS1_jEEvDpT3_,"axG",@progbits,_Z6kernelI13subtract_leftLj256ELj4ELb0EJPiS1_jEEvDpT3_,comdat
	.protected	_Z6kernelI13subtract_leftLj256ELj4ELb0EJPiS1_jEEvDpT3_ ; -- Begin function _Z6kernelI13subtract_leftLj256ELj4ELb0EJPiS1_jEEvDpT3_
	.globl	_Z6kernelI13subtract_leftLj256ELj4ELb0EJPiS1_jEEvDpT3_
	.p2align	8
	.type	_Z6kernelI13subtract_leftLj256ELj4ELb0EJPiS1_jEEvDpT3_,@function
_Z6kernelI13subtract_leftLj256ELj4ELb0EJPiS1_jEEvDpT3_: ; @_Z6kernelI13subtract_leftLj256ELj4ELb0EJPiS1_jEEvDpT3_
; %bb.0:
	s_load_b128 s[4:7], s[0:1], 0x0
	s_mov_b32 s3, 0
	s_lshl_b32 s2, s15, 10
	v_lshlrev_b32_e32 v1, 2, v0
	s_lshl_b64 s[2:3], s[2:3], 2
	s_load_b32 s0, s[0:1], 0x10
	s_waitcnt lgkmcnt(0)
	s_add_u32 s4, s4, s2
	s_addc_u32 s5, s5, s3
	s_clause 0x3
	global_load_b32 v5, v1, s[4:5]
	global_load_b32 v4, v1, s[4:5] offset:1024
	global_load_b32 v3, v1, s[4:5] offset:2048
	;; [unrolled: 1-line block ×3, first 2 shown]
	s_cmp_eq_u32 s0, 0
	s_cbranch_scc1 .LBB2_5
; %bb.1:
	v_cmp_ne_u32_e32 vcc_lo, 0, v0
	v_add_nc_u32_e32 v0, -4, v1
	s_branch .LBB2_3
	.p2align	6
.LBB2_2:                                ;   in Loop: Header=BB2_3 Depth=1
	s_or_b32 exec_lo, exec_lo, s1
	v_sub_nc_u32_e32 v7, v4, v5
	v_sub_nc_u32_e32 v8, v3, v4
	;; [unrolled: 1-line block ×3, first 2 shown]
	v_add_nc_u32_e32 v5, v6, v5
	s_add_i32 s0, s0, -1
	v_add_nc_u32_e32 v4, v7, v4
	v_add_nc_u32_e32 v3, v8, v3
	v_add_nc_u32_e32 v2, v9, v2
	s_cmp_lg_u32 s0, 0
	s_barrier
	buffer_gl0_inv
	s_cbranch_scc0 .LBB2_5
.LBB2_3:                                ; =>This Inner Loop Header: Depth=1
	s_waitcnt vmcnt(3)
	v_mov_b32_e32 v6, v5
	s_waitcnt vmcnt(0)
	ds_store_b32 v1, v2
	s_waitcnt lgkmcnt(0)
	s_barrier
	buffer_gl0_inv
	s_and_saveexec_b32 s1, vcc_lo
	s_cbranch_execz .LBB2_2
; %bb.4:                                ;   in Loop: Header=BB2_3 Depth=1
	ds_load_b32 v6, v0
	s_waitcnt lgkmcnt(0)
	v_sub_nc_u32_e32 v6, v5, v6
	s_branch .LBB2_2
.LBB2_5:
	s_add_u32 s0, s6, s2
	s_addc_u32 s1, s7, s3
	s_waitcnt vmcnt(3)
	global_store_b32 v1, v5, s[0:1]
	s_waitcnt vmcnt(2)
	global_store_b32 v1, v4, s[0:1] offset:1024
	s_waitcnt vmcnt(1)
	global_store_b32 v1, v3, s[0:1] offset:2048
	;; [unrolled: 2-line block ×3, first 2 shown]
	s_nop 0
	s_sendmsg sendmsg(MSG_DEALLOC_VGPRS)
	s_endpgm
	.section	.rodata,"a",@progbits
	.p2align	6, 0x0
	.amdhsa_kernel _Z6kernelI13subtract_leftLj256ELj4ELb0EJPiS1_jEEvDpT3_
		.amdhsa_group_segment_fixed_size 2048
		.amdhsa_private_segment_fixed_size 0
		.amdhsa_kernarg_size 20
		.amdhsa_user_sgpr_count 15
		.amdhsa_user_sgpr_dispatch_ptr 0
		.amdhsa_user_sgpr_queue_ptr 0
		.amdhsa_user_sgpr_kernarg_segment_ptr 1
		.amdhsa_user_sgpr_dispatch_id 0
		.amdhsa_user_sgpr_private_segment_size 0
		.amdhsa_wavefront_size32 1
		.amdhsa_uses_dynamic_stack 0
		.amdhsa_enable_private_segment 0
		.amdhsa_system_sgpr_workgroup_id_x 1
		.amdhsa_system_sgpr_workgroup_id_y 0
		.amdhsa_system_sgpr_workgroup_id_z 0
		.amdhsa_system_sgpr_workgroup_info 0
		.amdhsa_system_vgpr_workitem_id 0
		.amdhsa_next_free_vgpr 10
		.amdhsa_next_free_sgpr 16
		.amdhsa_reserve_vcc 1
		.amdhsa_float_round_mode_32 0
		.amdhsa_float_round_mode_16_64 0
		.amdhsa_float_denorm_mode_32 3
		.amdhsa_float_denorm_mode_16_64 3
		.amdhsa_dx10_clamp 1
		.amdhsa_ieee_mode 1
		.amdhsa_fp16_overflow 0
		.amdhsa_workgroup_processor_mode 1
		.amdhsa_memory_ordered 1
		.amdhsa_forward_progress 0
		.amdhsa_shared_vgpr_count 0
		.amdhsa_exception_fp_ieee_invalid_op 0
		.amdhsa_exception_fp_denorm_src 0
		.amdhsa_exception_fp_ieee_div_zero 0
		.amdhsa_exception_fp_ieee_overflow 0
		.amdhsa_exception_fp_ieee_underflow 0
		.amdhsa_exception_fp_ieee_inexact 0
		.amdhsa_exception_int_div_zero 0
	.end_amdhsa_kernel
	.section	.text._Z6kernelI13subtract_leftLj256ELj4ELb0EJPiS1_jEEvDpT3_,"axG",@progbits,_Z6kernelI13subtract_leftLj256ELj4ELb0EJPiS1_jEEvDpT3_,comdat
.Lfunc_end2:
	.size	_Z6kernelI13subtract_leftLj256ELj4ELb0EJPiS1_jEEvDpT3_, .Lfunc_end2-_Z6kernelI13subtract_leftLj256ELj4ELb0EJPiS1_jEEvDpT3_
                                        ; -- End function
	.section	.AMDGPU.csdata,"",@progbits
; Kernel info:
; codeLenInByte = 288
; NumSgprs: 18
; NumVgprs: 10
; ScratchSize: 0
; MemoryBound: 0
; FloatMode: 240
; IeeeMode: 1
; LDSByteSize: 2048 bytes/workgroup (compile time only)
; SGPRBlocks: 2
; VGPRBlocks: 1
; NumSGPRsForWavesPerEU: 18
; NumVGPRsForWavesPerEU: 10
; Occupancy: 16
; WaveLimiterHint : 1
; COMPUTE_PGM_RSRC2:SCRATCH_EN: 0
; COMPUTE_PGM_RSRC2:USER_SGPR: 15
; COMPUTE_PGM_RSRC2:TRAP_HANDLER: 0
; COMPUTE_PGM_RSRC2:TGID_X_EN: 1
; COMPUTE_PGM_RSRC2:TGID_Y_EN: 0
; COMPUTE_PGM_RSRC2:TGID_Z_EN: 0
; COMPUTE_PGM_RSRC2:TIDIG_COMP_CNT: 0
	.section	.text._Z6kernelI13subtract_leftLj256ELj8ELb0EJPiS1_jEEvDpT3_,"axG",@progbits,_Z6kernelI13subtract_leftLj256ELj8ELb0EJPiS1_jEEvDpT3_,comdat
	.protected	_Z6kernelI13subtract_leftLj256ELj8ELb0EJPiS1_jEEvDpT3_ ; -- Begin function _Z6kernelI13subtract_leftLj256ELj8ELb0EJPiS1_jEEvDpT3_
	.globl	_Z6kernelI13subtract_leftLj256ELj8ELb0EJPiS1_jEEvDpT3_
	.p2align	8
	.type	_Z6kernelI13subtract_leftLj256ELj8ELb0EJPiS1_jEEvDpT3_,@function
_Z6kernelI13subtract_leftLj256ELj8ELb0EJPiS1_jEEvDpT3_: ; @_Z6kernelI13subtract_leftLj256ELj8ELb0EJPiS1_jEEvDpT3_
; %bb.0:
	s_load_b128 s[4:7], s[0:1], 0x0
	s_mov_b32 s3, 0
	s_lshl_b32 s2, s15, 11
	v_lshlrev_b32_e32 v1, 2, v0
	s_lshl_b64 s[2:3], s[2:3], 2
	s_load_b32 s0, s[0:1], 0x10
	s_waitcnt lgkmcnt(0)
	s_add_u32 s4, s4, s2
	s_addc_u32 s5, s5, s3
	v_add_co_u32 v2, s1, s4, v1
	s_delay_alu instid0(VALU_DEP_1) | instskip(SKIP_1) | instid1(VALU_DEP_2)
	v_add_co_ci_u32_e64 v3, null, s5, 0, s1
	s_cmp_eq_u32 s0, 0
	v_add_co_u32 v10, vcc_lo, 0x1000, v2
	s_delay_alu instid0(VALU_DEP_2)
	v_add_co_ci_u32_e32 v11, vcc_lo, 0, v3, vcc_lo
	s_clause 0x7
	global_load_b32 v5, v1, s[4:5]
	global_load_b32 v6, v1, s[4:5] offset:1024
	global_load_b32 v3, v1, s[4:5] offset:2048
	;; [unrolled: 1-line block ×3, first 2 shown]
	global_load_b32 v7, v[10:11], off
	global_load_b32 v8, v[10:11], off offset:1024
	global_load_b32 v9, v[10:11], off offset:2048
	global_load_b32 v2, v[10:11], off offset:3072
	s_cbranch_scc1 .LBB3_6
; %bb.1:
	v_cmp_ne_u32_e32 vcc_lo, 0, v0
	v_add_nc_u32_e32 v0, -4, v1
	s_set_inst_prefetch_distance 0x1
	.p2align	6
.LBB3_2:                                ; =>This Inner Loop Header: Depth=1
	s_waitcnt vmcnt(7)
	v_mov_b32_e32 v10, v5
	s_waitcnt vmcnt(0)
	ds_store_b32 v1, v2
	s_waitcnt lgkmcnt(0)
	s_barrier
	buffer_gl0_inv
	s_and_saveexec_b32 s1, vcc_lo
	s_cbranch_execz .LBB3_4
; %bb.3:                                ;   in Loop: Header=BB3_2 Depth=1
	ds_load_b32 v10, v0
	s_waitcnt lgkmcnt(0)
	v_sub_nc_u32_e32 v10, v5, v10
.LBB3_4:                                ;   in Loop: Header=BB3_2 Depth=1
	s_or_b32 exec_lo, exec_lo, s1
	v_lshlrev_b32_e32 v11, 1, v6
	v_lshlrev_b32_e32 v12, 1, v3
	s_delay_alu instid0(VALU_DEP_3)
	v_add_nc_u32_e32 v15, v10, v5
	v_lshlrev_b32_e32 v10, 1, v4
	v_lshlrev_b32_e32 v17, 1, v9
	v_sub_nc_u32_e32 v14, v11, v5
	v_sub_nc_u32_e32 v12, v12, v6
	v_lshlrev_b32_e32 v5, 1, v7
	v_lshlrev_b32_e32 v6, 1, v8
	;; [unrolled: 1-line block ×3, first 2 shown]
	v_sub_nc_u32_e32 v16, v10, v3
	v_sub_nc_u32_e32 v10, v17, v8
	;; [unrolled: 1-line block ×5, first 2 shown]
	s_add_i32 s0, s0, -1
	s_delay_alu instid0(SALU_CYCLE_1)
	s_cmp_lg_u32 s0, 0
	s_barrier
	buffer_gl0_inv
	s_cbranch_scc0 .LBB3_7
; %bb.5:                                ;   in Loop: Header=BB3_2 Depth=1
	v_dual_mov_b32 v5, v15 :: v_dual_mov_b32 v6, v14
	v_dual_mov_b32 v3, v12 :: v_dual_mov_b32 v8, v11
	;; [unrolled: 1-line block ×3, first 2 shown]
	v_mov_b32_e32 v9, v10
	s_branch .LBB3_2
.LBB3_6:
	s_waitcnt vmcnt(1)
	v_dual_mov_b32 v10, v9 :: v_dual_mov_b32 v11, v8
	v_dual_mov_b32 v13, v7 :: v_dual_mov_b32 v16, v4
	;; [unrolled: 1-line block ×3, first 2 shown]
	v_mov_b32_e32 v14, v6
.LBB3_7:
	s_set_inst_prefetch_distance 0x2
	s_add_u32 s0, s6, s2
	s_addc_u32 s1, s7, s3
	v_add_co_u32 v0, s2, s0, v1
	s_delay_alu instid0(VALU_DEP_1) | instskip(NEXT) | instid1(VALU_DEP_2)
	v_add_co_ci_u32_e64 v4, null, s1, 0, s2
	v_add_co_u32 v3, vcc_lo, 0x1000, v0
	s_delay_alu instid0(VALU_DEP_2)
	v_add_co_ci_u32_e32 v4, vcc_lo, 0, v4, vcc_lo
	s_clause 0x6
	global_store_b32 v1, v15, s[0:1]
	global_store_b32 v1, v14, s[0:1] offset:1024
	global_store_b32 v1, v12, s[0:1] offset:2048
	;; [unrolled: 1-line block ×3, first 2 shown]
	global_store_b32 v[3:4], v13, off
	global_store_b32 v[3:4], v11, off offset:1024
	global_store_b32 v[3:4], v10, off offset:2048
	s_waitcnt vmcnt(0)
	global_store_b32 v[3:4], v2, off offset:3072
	s_nop 0
	s_sendmsg sendmsg(MSG_DEALLOC_VGPRS)
	s_endpgm
	.section	.rodata,"a",@progbits
	.p2align	6, 0x0
	.amdhsa_kernel _Z6kernelI13subtract_leftLj256ELj8ELb0EJPiS1_jEEvDpT3_
		.amdhsa_group_segment_fixed_size 2048
		.amdhsa_private_segment_fixed_size 0
		.amdhsa_kernarg_size 20
		.amdhsa_user_sgpr_count 15
		.amdhsa_user_sgpr_dispatch_ptr 0
		.amdhsa_user_sgpr_queue_ptr 0
		.amdhsa_user_sgpr_kernarg_segment_ptr 1
		.amdhsa_user_sgpr_dispatch_id 0
		.amdhsa_user_sgpr_private_segment_size 0
		.amdhsa_wavefront_size32 1
		.amdhsa_uses_dynamic_stack 0
		.amdhsa_enable_private_segment 0
		.amdhsa_system_sgpr_workgroup_id_x 1
		.amdhsa_system_sgpr_workgroup_id_y 0
		.amdhsa_system_sgpr_workgroup_id_z 0
		.amdhsa_system_sgpr_workgroup_info 0
		.amdhsa_system_vgpr_workitem_id 0
		.amdhsa_next_free_vgpr 18
		.amdhsa_next_free_sgpr 16
		.amdhsa_reserve_vcc 1
		.amdhsa_float_round_mode_32 0
		.amdhsa_float_round_mode_16_64 0
		.amdhsa_float_denorm_mode_32 3
		.amdhsa_float_denorm_mode_16_64 3
		.amdhsa_dx10_clamp 1
		.amdhsa_ieee_mode 1
		.amdhsa_fp16_overflow 0
		.amdhsa_workgroup_processor_mode 1
		.amdhsa_memory_ordered 1
		.amdhsa_forward_progress 0
		.amdhsa_shared_vgpr_count 0
		.amdhsa_exception_fp_ieee_invalid_op 0
		.amdhsa_exception_fp_denorm_src 0
		.amdhsa_exception_fp_ieee_div_zero 0
		.amdhsa_exception_fp_ieee_overflow 0
		.amdhsa_exception_fp_ieee_underflow 0
		.amdhsa_exception_fp_ieee_inexact 0
		.amdhsa_exception_int_div_zero 0
	.end_amdhsa_kernel
	.section	.text._Z6kernelI13subtract_leftLj256ELj8ELb0EJPiS1_jEEvDpT3_,"axG",@progbits,_Z6kernelI13subtract_leftLj256ELj8ELb0EJPiS1_jEEvDpT3_,comdat
.Lfunc_end3:
	.size	_Z6kernelI13subtract_leftLj256ELj8ELb0EJPiS1_jEEvDpT3_, .Lfunc_end3-_Z6kernelI13subtract_leftLj256ELj8ELb0EJPiS1_jEEvDpT3_
                                        ; -- End function
	.section	.AMDGPU.csdata,"",@progbits
; Kernel info:
; codeLenInByte = 528
; NumSgprs: 18
; NumVgprs: 18
; ScratchSize: 0
; MemoryBound: 0
; FloatMode: 240
; IeeeMode: 1
; LDSByteSize: 2048 bytes/workgroup (compile time only)
; SGPRBlocks: 2
; VGPRBlocks: 2
; NumSGPRsForWavesPerEU: 18
; NumVGPRsForWavesPerEU: 18
; Occupancy: 16
; WaveLimiterHint : 1
; COMPUTE_PGM_RSRC2:SCRATCH_EN: 0
; COMPUTE_PGM_RSRC2:USER_SGPR: 15
; COMPUTE_PGM_RSRC2:TRAP_HANDLER: 0
; COMPUTE_PGM_RSRC2:TGID_X_EN: 1
; COMPUTE_PGM_RSRC2:TGID_Y_EN: 0
; COMPUTE_PGM_RSRC2:TGID_Z_EN: 0
; COMPUTE_PGM_RSRC2:TIDIG_COMP_CNT: 0
	.section	.text._Z6kernelI13subtract_leftLj256ELj16ELb0EJPiS1_jEEvDpT3_,"axG",@progbits,_Z6kernelI13subtract_leftLj256ELj16ELb0EJPiS1_jEEvDpT3_,comdat
	.protected	_Z6kernelI13subtract_leftLj256ELj16ELb0EJPiS1_jEEvDpT3_ ; -- Begin function _Z6kernelI13subtract_leftLj256ELj16ELb0EJPiS1_jEEvDpT3_
	.globl	_Z6kernelI13subtract_leftLj256ELj16ELb0EJPiS1_jEEvDpT3_
	.p2align	8
	.type	_Z6kernelI13subtract_leftLj256ELj16ELb0EJPiS1_jEEvDpT3_,@function
_Z6kernelI13subtract_leftLj256ELj16ELb0EJPiS1_jEEvDpT3_: ; @_Z6kernelI13subtract_leftLj256ELj16ELb0EJPiS1_jEEvDpT3_
; %bb.0:
	s_load_b128 s[4:7], s[0:1], 0x0
	s_mov_b32 s3, 0
	s_lshl_b32 s2, s15, 12
	v_lshlrev_b32_e32 v1, 2, v0
	s_lshl_b64 s[2:3], s[2:3], 2
	s_load_b32 s0, s[0:1], 0x10
	s_waitcnt lgkmcnt(0)
	s_add_u32 s4, s4, s2
	s_addc_u32 s5, s5, s3
	v_add_co_u32 v6, s1, s4, v1
	s_delay_alu instid0(VALU_DEP_1) | instskip(SKIP_1) | instid1(VALU_DEP_2)
	v_add_co_ci_u32_e64 v7, null, s5, 0, s1
	s_cmp_eq_u32 s0, 0
	v_add_co_u32 v2, vcc_lo, 0x1000, v6
	s_delay_alu instid0(VALU_DEP_2)
	v_add_co_ci_u32_e32 v3, vcc_lo, 0, v7, vcc_lo
	v_add_co_u32 v18, vcc_lo, v6, 0x2000
	v_add_co_ci_u32_e32 v19, vcc_lo, 0, v7, vcc_lo
	v_add_co_u32 v4, vcc_lo, 0x2000, v6
	;; [unrolled: 2-line block ×3, first 2 shown]
	v_add_co_ci_u32_e32 v21, vcc_lo, 0, v7, vcc_lo
	s_clause 0xf
	global_load_b32 v17, v[18:19], off
	global_load_b32 v16, v1, s[4:5]
	global_load_b32 v15, v1, s[4:5] offset:1024
	global_load_b32 v14, v1, s[4:5] offset:2048
	;; [unrolled: 1-line block ×3, first 2 shown]
	global_load_b32 v11, v[2:3], off offset:1024
	global_load_b32 v10, v[2:3], off offset:2048
	;; [unrolled: 1-line block ×6, first 2 shown]
	global_load_b32 v5, v[20:21], off
	global_load_b32 v4, v[20:21], off offset:1024
	global_load_b32 v3, v[20:21], off offset:2048
	global_load_b32 v12, v[18:19], off offset:-4096
	global_load_b32 v2, v[20:21], off offset:3072
	s_cbranch_scc1 .LBB4_5
; %bb.1:
	v_cmp_ne_u32_e32 vcc_lo, 0, v0
	v_add_nc_u32_e32 v0, -4, v1
	s_set_inst_prefetch_distance 0x1
	s_branch .LBB4_3
	.p2align	6
.LBB4_2:                                ;   in Loop: Header=BB4_3 Depth=1
	s_or_b32 exec_lo, exec_lo, s1
	v_sub_nc_u32_e32 v19, v2, v3
	v_sub_nc_u32_e32 v20, v3, v4
	;; [unrolled: 1-line block ×15, first 2 shown]
	v_add_nc_u32_e32 v16, v18, v16
	v_add_nc_u32_e32 v15, v30, v15
	;; [unrolled: 1-line block ×16, first 2 shown]
	s_add_i32 s0, s0, -1
	s_delay_alu instid0(SALU_CYCLE_1)
	s_cmp_lg_u32 s0, 0
	s_barrier
	buffer_gl0_inv
	s_cbranch_scc0 .LBB4_5
.LBB4_3:                                ; =>This Inner Loop Header: Depth=1
	s_waitcnt vmcnt(14)
	v_mov_b32_e32 v18, v16
	s_waitcnt vmcnt(0)
	ds_store_b32 v1, v2
	s_waitcnt lgkmcnt(0)
	s_barrier
	buffer_gl0_inv
	s_and_saveexec_b32 s1, vcc_lo
	s_cbranch_execz .LBB4_2
; %bb.4:                                ;   in Loop: Header=BB4_3 Depth=1
	ds_load_b32 v18, v0
	s_waitcnt lgkmcnt(0)
	v_sub_nc_u32_e32 v18, v16, v18
	s_branch .LBB4_2
.LBB4_5:
	s_set_inst_prefetch_distance 0x2
	s_add_u32 s0, s6, s2
	s_addc_u32 s1, s7, s3
	v_add_co_u32 v0, s2, s0, v1
	s_delay_alu instid0(VALU_DEP_1) | instskip(NEXT) | instid1(VALU_DEP_2)
	v_add_co_ci_u32_e64 v25, null, s1, 0, s2
	v_add_co_u32 v18, vcc_lo, 0x1000, v0
	s_delay_alu instid0(VALU_DEP_2)
	v_add_co_ci_u32_e32 v19, vcc_lo, 0, v25, vcc_lo
	v_add_co_u32 v20, vcc_lo, v0, 0x2000
	v_add_co_ci_u32_e32 v21, vcc_lo, 0, v25, vcc_lo
	v_add_co_u32 v22, vcc_lo, 0x2000, v0
	;; [unrolled: 2-line block ×3, first 2 shown]
	s_waitcnt vmcnt(15)
	global_store_b32 v[20:21], v17, off
	v_add_co_ci_u32_e32 v25, vcc_lo, 0, v25, vcc_lo
	s_waitcnt vmcnt(14)
	global_store_b32 v1, v16, s[0:1]
	s_waitcnt vmcnt(13)
	global_store_b32 v1, v15, s[0:1] offset:1024
	s_waitcnt vmcnt(12)
	global_store_b32 v1, v14, s[0:1] offset:2048
	;; [unrolled: 2-line block ×3, first 2 shown]
	s_waitcnt vmcnt(10)
	global_store_b32 v[18:19], v11, off offset:1024
	s_waitcnt vmcnt(9)
	global_store_b32 v[18:19], v10, off offset:2048
	;; [unrolled: 2-line block ×6, first 2 shown]
	s_waitcnt vmcnt(4)
	global_store_b32 v[24:25], v5, off
	s_waitcnt vmcnt(3)
	global_store_b32 v[24:25], v4, off offset:1024
	s_waitcnt vmcnt(2)
	global_store_b32 v[24:25], v3, off offset:2048
	s_waitcnt vmcnt(1)
	global_store_b32 v[20:21], v12, off offset:-4096
	s_waitcnt vmcnt(0)
	global_store_b32 v[24:25], v2, off offset:3072
	s_nop 0
	s_sendmsg sendmsg(MSG_DEALLOC_VGPRS)
	s_endpgm
	.section	.rodata,"a",@progbits
	.p2align	6, 0x0
	.amdhsa_kernel _Z6kernelI13subtract_leftLj256ELj16ELb0EJPiS1_jEEvDpT3_
		.amdhsa_group_segment_fixed_size 2048
		.amdhsa_private_segment_fixed_size 0
		.amdhsa_kernarg_size 20
		.amdhsa_user_sgpr_count 15
		.amdhsa_user_sgpr_dispatch_ptr 0
		.amdhsa_user_sgpr_queue_ptr 0
		.amdhsa_user_sgpr_kernarg_segment_ptr 1
		.amdhsa_user_sgpr_dispatch_id 0
		.amdhsa_user_sgpr_private_segment_size 0
		.amdhsa_wavefront_size32 1
		.amdhsa_uses_dynamic_stack 0
		.amdhsa_enable_private_segment 0
		.amdhsa_system_sgpr_workgroup_id_x 1
		.amdhsa_system_sgpr_workgroup_id_y 0
		.amdhsa_system_sgpr_workgroup_id_z 0
		.amdhsa_system_sgpr_workgroup_info 0
		.amdhsa_system_vgpr_workitem_id 0
		.amdhsa_next_free_vgpr 34
		.amdhsa_next_free_sgpr 16
		.amdhsa_reserve_vcc 1
		.amdhsa_float_round_mode_32 0
		.amdhsa_float_round_mode_16_64 0
		.amdhsa_float_denorm_mode_32 3
		.amdhsa_float_denorm_mode_16_64 3
		.amdhsa_dx10_clamp 1
		.amdhsa_ieee_mode 1
		.amdhsa_fp16_overflow 0
		.amdhsa_workgroup_processor_mode 1
		.amdhsa_memory_ordered 1
		.amdhsa_forward_progress 0
		.amdhsa_shared_vgpr_count 0
		.amdhsa_exception_fp_ieee_invalid_op 0
		.amdhsa_exception_fp_denorm_src 0
		.amdhsa_exception_fp_ieee_div_zero 0
		.amdhsa_exception_fp_ieee_overflow 0
		.amdhsa_exception_fp_ieee_underflow 0
		.amdhsa_exception_fp_ieee_inexact 0
		.amdhsa_exception_int_div_zero 0
	.end_amdhsa_kernel
	.section	.text._Z6kernelI13subtract_leftLj256ELj16ELb0EJPiS1_jEEvDpT3_,"axG",@progbits,_Z6kernelI13subtract_leftLj256ELj16ELb0EJPiS1_jEEvDpT3_,comdat
.Lfunc_end4:
	.size	_Z6kernelI13subtract_leftLj256ELj16ELb0EJPiS1_jEEvDpT3_, .Lfunc_end4-_Z6kernelI13subtract_leftLj256ELj16ELb0EJPiS1_jEEvDpT3_
                                        ; -- End function
	.section	.AMDGPU.csdata,"",@progbits
; Kernel info:
; codeLenInByte = 812
; NumSgprs: 18
; NumVgprs: 34
; ScratchSize: 0
; MemoryBound: 0
; FloatMode: 240
; IeeeMode: 1
; LDSByteSize: 2048 bytes/workgroup (compile time only)
; SGPRBlocks: 2
; VGPRBlocks: 4
; NumSGPRsForWavesPerEU: 18
; NumVGPRsForWavesPerEU: 34
; Occupancy: 16
; WaveLimiterHint : 1
; COMPUTE_PGM_RSRC2:SCRATCH_EN: 0
; COMPUTE_PGM_RSRC2:USER_SGPR: 15
; COMPUTE_PGM_RSRC2:TRAP_HANDLER: 0
; COMPUTE_PGM_RSRC2:TGID_X_EN: 1
; COMPUTE_PGM_RSRC2:TGID_Y_EN: 0
; COMPUTE_PGM_RSRC2:TGID_Z_EN: 0
; COMPUTE_PGM_RSRC2:TIDIG_COMP_CNT: 0
	.section	.text._Z6kernelI13subtract_leftLj256ELj32ELb0EJPiS1_jEEvDpT3_,"axG",@progbits,_Z6kernelI13subtract_leftLj256ELj32ELb0EJPiS1_jEEvDpT3_,comdat
	.protected	_Z6kernelI13subtract_leftLj256ELj32ELb0EJPiS1_jEEvDpT3_ ; -- Begin function _Z6kernelI13subtract_leftLj256ELj32ELb0EJPiS1_jEEvDpT3_
	.globl	_Z6kernelI13subtract_leftLj256ELj32ELb0EJPiS1_jEEvDpT3_
	.p2align	8
	.type	_Z6kernelI13subtract_leftLj256ELj32ELb0EJPiS1_jEEvDpT3_,@function
_Z6kernelI13subtract_leftLj256ELj32ELb0EJPiS1_jEEvDpT3_: ; @_Z6kernelI13subtract_leftLj256ELj32ELb0EJPiS1_jEEvDpT3_
; %bb.0:
	s_load_b128 s[4:7], s[0:1], 0x0
	s_mov_b32 s3, 0
	s_lshl_b32 s2, s15, 13
	v_lshlrev_b32_e32 v1, 2, v0
	s_lshl_b64 s[2:3], s[2:3], 2
	s_load_b32 s0, s[0:1], 0x10
	s_waitcnt lgkmcnt(0)
	s_add_u32 s4, s4, s2
	s_addc_u32 s5, s5, s3
	v_add_co_u32 v10, s1, s4, v1
	s_delay_alu instid0(VALU_DEP_1) | instskip(SKIP_1) | instid1(VALU_DEP_2)
	v_add_co_ci_u32_e64 v11, null, s5, 0, s1
	s_cmp_eq_u32 s0, 0
	v_add_co_u32 v2, vcc_lo, 0x1000, v10
	s_delay_alu instid0(VALU_DEP_2)
	v_add_co_ci_u32_e32 v3, vcc_lo, 0, v11, vcc_lo
	v_add_co_u32 v34, vcc_lo, v10, 0x2000
	v_add_co_ci_u32_e32 v35, vcc_lo, 0, v11, vcc_lo
	v_add_co_u32 v4, vcc_lo, 0x2000, v10
	v_add_co_ci_u32_e32 v5, vcc_lo, 0, v11, vcc_lo
	s_clause 0x7
	global_load_b32 v33, v1, s[4:5]
	global_load_b32 v32, v1, s[4:5] offset:1024
	global_load_b32 v31, v1, s[4:5] offset:2048
	global_load_b32 v30, v1, s[4:5] offset:3072
	global_load_b32 v28, v[2:3], off offset:1024
	global_load_b32 v27, v[2:3], off offset:2048
	;; [unrolled: 1-line block ×4, first 2 shown]
	v_add_co_u32 v2, vcc_lo, 0x3000, v10
	v_add_co_ci_u32_e32 v3, vcc_lo, 0, v11, vcc_lo
	v_add_co_u32 v6, vcc_lo, v10, 0x4000
	v_add_co_ci_u32_e32 v7, vcc_lo, 0, v11, vcc_lo
	;; [unrolled: 2-line block ×3, first 2 shown]
	s_clause 0x7
	global_load_b32 v23, v[4:5], off offset:2048
	global_load_b32 v22, v[4:5], off offset:3072
	;; [unrolled: 1-line block ×8, first 2 shown]
	v_add_co_u32 v2, vcc_lo, 0x5000, v10
	v_add_co_ci_u32_e32 v3, vcc_lo, 0, v11, vcc_lo
	v_add_co_u32 v4, vcc_lo, v10, 0x6000
	v_add_co_ci_u32_e32 v5, vcc_lo, 0, v11, vcc_lo
	;; [unrolled: 2-line block ×3, first 2 shown]
	v_add_co_u32 v38, vcc_lo, 0x7000, v10
	s_clause 0x4
	global_load_b32 v25, v[34:35], off
	global_load_b32 v21, v[6:7], off offset:-4096
	global_load_b32 v17, v[6:7], off
	global_load_b32 v13, v[4:5], off offset:-4096
	global_load_b32 v9, v[4:5], off
	v_add_co_ci_u32_e32 v39, vcc_lo, 0, v11, vcc_lo
	s_clause 0xa
	global_load_b32 v12, v[2:3], off offset:1024
	global_load_b32 v11, v[2:3], off offset:2048
	;; [unrolled: 1-line block ×6, first 2 shown]
	global_load_b32 v5, v[38:39], off
	global_load_b32 v4, v[38:39], off offset:1024
	global_load_b32 v3, v[38:39], off offset:2048
	global_load_b32 v29, v[34:35], off offset:-4096
	global_load_b32 v2, v[38:39], off offset:3072
	s_cbranch_scc1 .LBB5_5
; %bb.1:
	v_cmp_ne_u32_e32 vcc_lo, 0, v0
	v_add_nc_u32_e32 v0, -4, v1
	s_branch .LBB5_3
.LBB5_2:                                ;   in Loop: Header=BB5_3 Depth=1
	s_or_b32 exec_lo, exec_lo, s1
	v_sub_nc_u32_e32 v35, v2, v3
	v_sub_nc_u32_e32 v36, v3, v4
	;; [unrolled: 1-line block ×31, first 2 shown]
	v_add_nc_u32_e32 v33, v34, v33
	v_add_nc_u32_e32 v32, v62, v32
	;; [unrolled: 1-line block ×32, first 2 shown]
	s_add_i32 s0, s0, -1
	s_delay_alu instid0(SALU_CYCLE_1)
	s_cmp_lg_u32 s0, 0
	s_barrier
	buffer_gl0_inv
	s_cbranch_scc0 .LBB5_5
.LBB5_3:                                ; =>This Inner Loop Header: Depth=1
	s_waitcnt vmcnt(31)
	v_mov_b32_e32 v34, v33
	s_waitcnt vmcnt(0)
	ds_store_b32 v1, v2
	s_waitcnt lgkmcnt(0)
	s_barrier
	buffer_gl0_inv
	s_and_saveexec_b32 s1, vcc_lo
	s_cbranch_execz .LBB5_2
; %bb.4:                                ;   in Loop: Header=BB5_3 Depth=1
	ds_load_b32 v34, v0
	s_waitcnt lgkmcnt(0)
	v_sub_nc_u32_e32 v34, v33, v34
	s_branch .LBB5_2
.LBB5_5:
	s_add_u32 s0, s6, s2
	s_addc_u32 s1, s7, s3
	v_add_co_u32 v40, s2, s0, v1
	s_delay_alu instid0(VALU_DEP_1) | instskip(NEXT) | instid1(VALU_DEP_2)
	v_add_co_ci_u32_e64 v41, null, s1, 0, s2
	v_add_co_u32 v34, vcc_lo, 0x1000, v40
	s_delay_alu instid0(VALU_DEP_2)
	v_add_co_ci_u32_e32 v35, vcc_lo, 0, v41, vcc_lo
	v_add_co_u32 v36, vcc_lo, v40, 0x2000
	v_add_co_ci_u32_e32 v37, vcc_lo, 0, v41, vcc_lo
	v_add_co_u32 v38, vcc_lo, 0x2000, v40
	;; [unrolled: 2-line block ×3, first 2 shown]
	s_waitcnt vmcnt(31)
	global_store_b32 v1, v33, s[0:1]
	s_waitcnt vmcnt(30)
	global_store_b32 v1, v32, s[0:1] offset:1024
	s_waitcnt vmcnt(29)
	global_store_b32 v1, v31, s[0:1] offset:2048
	;; [unrolled: 2-line block ×3, first 2 shown]
	s_waitcnt vmcnt(27)
	global_store_b32 v[34:35], v28, off offset:1024
	s_waitcnt vmcnt(26)
	global_store_b32 v[34:35], v27, off offset:2048
	;; [unrolled: 2-line block ×4, first 2 shown]
	v_add_co_ci_u32_e32 v1, vcc_lo, 0, v41, vcc_lo
	v_add_co_u32 v26, vcc_lo, v40, 0x4000
	v_add_co_ci_u32_e32 v27, vcc_lo, 0, v41, vcc_lo
	v_add_co_u32 v30, vcc_lo, 0x4000, v40
	v_add_co_ci_u32_e32 v31, vcc_lo, 0, v41, vcc_lo
	s_waitcnt vmcnt(23)
	global_store_b32 v[38:39], v23, off offset:2048
	s_waitcnt vmcnt(22)
	global_store_b32 v[38:39], v22, off offset:3072
	;; [unrolled: 2-line block ×8, first 2 shown]
	v_add_co_u32 v0, vcc_lo, 0x5000, v40
	v_add_co_ci_u32_e32 v1, vcc_lo, 0, v41, vcc_lo
	v_add_co_u32 v14, vcc_lo, v40, 0x6000
	v_add_co_ci_u32_e32 v15, vcc_lo, 0, v41, vcc_lo
	;; [unrolled: 2-line block ×3, first 2 shown]
	s_waitcnt vmcnt(15)
	global_store_b32 v[36:37], v25, off
	s_waitcnt vmcnt(14)
	global_store_b32 v[26:27], v21, off offset:-4096
	s_waitcnt vmcnt(13)
	global_store_b32 v[26:27], v17, off
	s_waitcnt vmcnt(12)
	global_store_b32 v[14:15], v13, off offset:-4096
	s_waitcnt vmcnt(11)
	global_store_b32 v[14:15], v9, off
	v_add_co_u32 v13, vcc_lo, 0x7000, v40
	v_add_co_ci_u32_e32 v14, vcc_lo, 0, v41, vcc_lo
	s_waitcnt vmcnt(10)
	global_store_b32 v[0:1], v12, off offset:1024
	s_waitcnt vmcnt(9)
	global_store_b32 v[0:1], v11, off offset:2048
	s_waitcnt vmcnt(8)
	global_store_b32 v[0:1], v10, off offset:3072
	s_waitcnt vmcnt(7)
	global_store_b32 v[18:19], v8, off offset:1024
	s_waitcnt vmcnt(6)
	global_store_b32 v[18:19], v7, off offset:2048
	s_waitcnt vmcnt(5)
	global_store_b32 v[18:19], v6, off offset:3072
	s_waitcnt vmcnt(4)
	global_store_b32 v[13:14], v5, off
	s_waitcnt vmcnt(3)
	global_store_b32 v[13:14], v4, off offset:1024
	s_waitcnt vmcnt(2)
	global_store_b32 v[13:14], v3, off offset:2048
	s_waitcnt vmcnt(1)
	global_store_b32 v[36:37], v29, off offset:-4096
	s_waitcnt vmcnt(0)
	global_store_b32 v[13:14], v2, off offset:3072
	s_nop 0
	s_sendmsg sendmsg(MSG_DEALLOC_VGPRS)
	s_endpgm
	.section	.rodata,"a",@progbits
	.p2align	6, 0x0
	.amdhsa_kernel _Z6kernelI13subtract_leftLj256ELj32ELb0EJPiS1_jEEvDpT3_
		.amdhsa_group_segment_fixed_size 2048
		.amdhsa_private_segment_fixed_size 0
		.amdhsa_kernarg_size 20
		.amdhsa_user_sgpr_count 15
		.amdhsa_user_sgpr_dispatch_ptr 0
		.amdhsa_user_sgpr_queue_ptr 0
		.amdhsa_user_sgpr_kernarg_segment_ptr 1
		.amdhsa_user_sgpr_dispatch_id 0
		.amdhsa_user_sgpr_private_segment_size 0
		.amdhsa_wavefront_size32 1
		.amdhsa_uses_dynamic_stack 0
		.amdhsa_enable_private_segment 0
		.amdhsa_system_sgpr_workgroup_id_x 1
		.amdhsa_system_sgpr_workgroup_id_y 0
		.amdhsa_system_sgpr_workgroup_id_z 0
		.amdhsa_system_sgpr_workgroup_info 0
		.amdhsa_system_vgpr_workitem_id 0
		.amdhsa_next_free_vgpr 66
		.amdhsa_next_free_sgpr 16
		.amdhsa_reserve_vcc 1
		.amdhsa_float_round_mode_32 0
		.amdhsa_float_round_mode_16_64 0
		.amdhsa_float_denorm_mode_32 3
		.amdhsa_float_denorm_mode_16_64 3
		.amdhsa_dx10_clamp 1
		.amdhsa_ieee_mode 1
		.amdhsa_fp16_overflow 0
		.amdhsa_workgroup_processor_mode 1
		.amdhsa_memory_ordered 1
		.amdhsa_forward_progress 0
		.amdhsa_shared_vgpr_count 0
		.amdhsa_exception_fp_ieee_invalid_op 0
		.amdhsa_exception_fp_denorm_src 0
		.amdhsa_exception_fp_ieee_div_zero 0
		.amdhsa_exception_fp_ieee_overflow 0
		.amdhsa_exception_fp_ieee_underflow 0
		.amdhsa_exception_fp_ieee_inexact 0
		.amdhsa_exception_int_div_zero 0
	.end_amdhsa_kernel
	.section	.text._Z6kernelI13subtract_leftLj256ELj32ELb0EJPiS1_jEEvDpT3_,"axG",@progbits,_Z6kernelI13subtract_leftLj256ELj32ELb0EJPiS1_jEEvDpT3_,comdat
.Lfunc_end5:
	.size	_Z6kernelI13subtract_leftLj256ELj32ELb0EJPiS1_jEEvDpT3_, .Lfunc_end5-_Z6kernelI13subtract_leftLj256ELj32ELb0EJPiS1_jEEvDpT3_
                                        ; -- End function
	.section	.AMDGPU.csdata,"",@progbits
; Kernel info:
; codeLenInByte = 1456
; NumSgprs: 18
; NumVgprs: 66
; ScratchSize: 0
; MemoryBound: 0
; FloatMode: 240
; IeeeMode: 1
; LDSByteSize: 2048 bytes/workgroup (compile time only)
; SGPRBlocks: 2
; VGPRBlocks: 8
; NumSGPRsForWavesPerEU: 18
; NumVGPRsForWavesPerEU: 66
; Occupancy: 16
; WaveLimiterHint : 1
; COMPUTE_PGM_RSRC2:SCRATCH_EN: 0
; COMPUTE_PGM_RSRC2:USER_SGPR: 15
; COMPUTE_PGM_RSRC2:TRAP_HANDLER: 0
; COMPUTE_PGM_RSRC2:TGID_X_EN: 1
; COMPUTE_PGM_RSRC2:TGID_Y_EN: 0
; COMPUTE_PGM_RSRC2:TGID_Z_EN: 0
; COMPUTE_PGM_RSRC2:TIDIG_COMP_CNT: 0
	.section	.text._Z6kernelI13subtract_leftLj256ELj1ELb0EJPfS1_jEEvDpT3_,"axG",@progbits,_Z6kernelI13subtract_leftLj256ELj1ELb0EJPfS1_jEEvDpT3_,comdat
	.protected	_Z6kernelI13subtract_leftLj256ELj1ELb0EJPfS1_jEEvDpT3_ ; -- Begin function _Z6kernelI13subtract_leftLj256ELj1ELb0EJPfS1_jEEvDpT3_
	.globl	_Z6kernelI13subtract_leftLj256ELj1ELb0EJPfS1_jEEvDpT3_
	.p2align	8
	.type	_Z6kernelI13subtract_leftLj256ELj1ELb0EJPfS1_jEEvDpT3_,@function
_Z6kernelI13subtract_leftLj256ELj1ELb0EJPfS1_jEEvDpT3_: ; @_Z6kernelI13subtract_leftLj256ELj1ELb0EJPfS1_jEEvDpT3_
; %bb.0:
	s_load_b128 s[4:7], s[0:1], 0x0
	s_lshl_b32 s2, s15, 8
	s_mov_b32 s3, 0
	v_lshlrev_b32_e32 v1, 2, v0
	s_lshl_b64 s[2:3], s[2:3], 2
	s_load_b32 s0, s[0:1], 0x10
	s_waitcnt lgkmcnt(0)
	s_add_u32 s4, s4, s2
	s_addc_u32 s5, s5, s3
	global_load_b32 v2, v1, s[4:5]
	s_cmp_eq_u32 s0, 0
	s_cbranch_scc1 .LBB6_5
; %bb.1:
	v_cmp_ne_u32_e32 vcc_lo, 0, v0
	v_add_nc_u32_e32 v0, -4, v1
	s_branch .LBB6_3
.LBB6_2:                                ;   in Loop: Header=BB6_3 Depth=1
	s_or_b32 exec_lo, exec_lo, s1
	s_delay_alu instid0(VALU_DEP_1) | instskip(SKIP_1) | instid1(SALU_CYCLE_1)
	v_add_f32_e32 v2, v2, v3
	s_add_i32 s0, s0, -1
	s_cmp_lg_u32 s0, 0
	s_barrier
	buffer_gl0_inv
	s_cbranch_scc0 .LBB6_5
.LBB6_3:                                ; =>This Inner Loop Header: Depth=1
	s_waitcnt vmcnt(0)
	v_mov_b32_e32 v3, v2
	ds_store_b32 v1, v2
	s_waitcnt lgkmcnt(0)
	s_barrier
	buffer_gl0_inv
	s_and_saveexec_b32 s1, vcc_lo
	s_cbranch_execz .LBB6_2
; %bb.4:                                ;   in Loop: Header=BB6_3 Depth=1
	ds_load_b32 v3, v0
	s_waitcnt lgkmcnt(0)
	v_sub_f32_e32 v3, v2, v3
	s_branch .LBB6_2
.LBB6_5:
	s_add_u32 s0, s6, s2
	s_addc_u32 s1, s7, s3
	s_waitcnt vmcnt(0)
	global_store_b32 v1, v2, s[0:1]
	s_nop 0
	s_sendmsg sendmsg(MSG_DEALLOC_VGPRS)
	s_endpgm
	.section	.rodata,"a",@progbits
	.p2align	6, 0x0
	.amdhsa_kernel _Z6kernelI13subtract_leftLj256ELj1ELb0EJPfS1_jEEvDpT3_
		.amdhsa_group_segment_fixed_size 2048
		.amdhsa_private_segment_fixed_size 0
		.amdhsa_kernarg_size 20
		.amdhsa_user_sgpr_count 15
		.amdhsa_user_sgpr_dispatch_ptr 0
		.amdhsa_user_sgpr_queue_ptr 0
		.amdhsa_user_sgpr_kernarg_segment_ptr 1
		.amdhsa_user_sgpr_dispatch_id 0
		.amdhsa_user_sgpr_private_segment_size 0
		.amdhsa_wavefront_size32 1
		.amdhsa_uses_dynamic_stack 0
		.amdhsa_enable_private_segment 0
		.amdhsa_system_sgpr_workgroup_id_x 1
		.amdhsa_system_sgpr_workgroup_id_y 0
		.amdhsa_system_sgpr_workgroup_id_z 0
		.amdhsa_system_sgpr_workgroup_info 0
		.amdhsa_system_vgpr_workitem_id 0
		.amdhsa_next_free_vgpr 4
		.amdhsa_next_free_sgpr 16
		.amdhsa_reserve_vcc 1
		.amdhsa_float_round_mode_32 0
		.amdhsa_float_round_mode_16_64 0
		.amdhsa_float_denorm_mode_32 3
		.amdhsa_float_denorm_mode_16_64 3
		.amdhsa_dx10_clamp 1
		.amdhsa_ieee_mode 1
		.amdhsa_fp16_overflow 0
		.amdhsa_workgroup_processor_mode 1
		.amdhsa_memory_ordered 1
		.amdhsa_forward_progress 0
		.amdhsa_shared_vgpr_count 0
		.amdhsa_exception_fp_ieee_invalid_op 0
		.amdhsa_exception_fp_denorm_src 0
		.amdhsa_exception_fp_ieee_div_zero 0
		.amdhsa_exception_fp_ieee_overflow 0
		.amdhsa_exception_fp_ieee_underflow 0
		.amdhsa_exception_fp_ieee_inexact 0
		.amdhsa_exception_int_div_zero 0
	.end_amdhsa_kernel
	.section	.text._Z6kernelI13subtract_leftLj256ELj1ELb0EJPfS1_jEEvDpT3_,"axG",@progbits,_Z6kernelI13subtract_leftLj256ELj1ELb0EJPfS1_jEEvDpT3_,comdat
.Lfunc_end6:
	.size	_Z6kernelI13subtract_leftLj256ELj1ELb0EJPfS1_jEEvDpT3_, .Lfunc_end6-_Z6kernelI13subtract_leftLj256ELj1ELb0EJPfS1_jEEvDpT3_
                                        ; -- End function
	.section	.AMDGPU.csdata,"",@progbits
; Kernel info:
; codeLenInByte = 200
; NumSgprs: 18
; NumVgprs: 4
; ScratchSize: 0
; MemoryBound: 0
; FloatMode: 240
; IeeeMode: 1
; LDSByteSize: 2048 bytes/workgroup (compile time only)
; SGPRBlocks: 2
; VGPRBlocks: 0
; NumSGPRsForWavesPerEU: 18
; NumVGPRsForWavesPerEU: 4
; Occupancy: 16
; WaveLimiterHint : 0
; COMPUTE_PGM_RSRC2:SCRATCH_EN: 0
; COMPUTE_PGM_RSRC2:USER_SGPR: 15
; COMPUTE_PGM_RSRC2:TRAP_HANDLER: 0
; COMPUTE_PGM_RSRC2:TGID_X_EN: 1
; COMPUTE_PGM_RSRC2:TGID_Y_EN: 0
; COMPUTE_PGM_RSRC2:TGID_Z_EN: 0
; COMPUTE_PGM_RSRC2:TIDIG_COMP_CNT: 0
	.section	.text._Z6kernelI13subtract_leftLj256ELj3ELb0EJPfS1_jEEvDpT3_,"axG",@progbits,_Z6kernelI13subtract_leftLj256ELj3ELb0EJPfS1_jEEvDpT3_,comdat
	.protected	_Z6kernelI13subtract_leftLj256ELj3ELb0EJPfS1_jEEvDpT3_ ; -- Begin function _Z6kernelI13subtract_leftLj256ELj3ELb0EJPfS1_jEEvDpT3_
	.globl	_Z6kernelI13subtract_leftLj256ELj3ELb0EJPfS1_jEEvDpT3_
	.p2align	8
	.type	_Z6kernelI13subtract_leftLj256ELj3ELb0EJPfS1_jEEvDpT3_,@function
_Z6kernelI13subtract_leftLj256ELj3ELb0EJPfS1_jEEvDpT3_: ; @_Z6kernelI13subtract_leftLj256ELj3ELb0EJPfS1_jEEvDpT3_
; %bb.0:
	s_load_b128 s[4:7], s[0:1], 0x0
	s_mov_b32 s3, 0
	s_mul_i32 s2, s15, 0x300
	v_lshlrev_b32_e32 v1, 2, v0
	s_lshl_b64 s[2:3], s[2:3], 2
	s_load_b32 s0, s[0:1], 0x10
	s_waitcnt lgkmcnt(0)
	s_add_u32 s4, s4, s2
	s_addc_u32 s5, s5, s3
	s_clause 0x2
	global_load_b32 v4, v1, s[4:5]
	global_load_b32 v3, v1, s[4:5] offset:1024
	global_load_b32 v2, v1, s[4:5] offset:2048
	s_cmp_eq_u32 s0, 0
	s_cbranch_scc1 .LBB7_5
; %bb.1:
	v_cmp_ne_u32_e32 vcc_lo, 0, v0
	v_add_nc_u32_e32 v0, -4, v1
	s_branch .LBB7_3
	.p2align	6
.LBB7_2:                                ;   in Loop: Header=BB7_3 Depth=1
	s_or_b32 exec_lo, exec_lo, s1
	v_dual_sub_f32 v6, v3, v4 :: v_dual_sub_f32 v7, v2, v3
	s_delay_alu instid0(VALU_DEP_2) | instskip(SKIP_1) | instid1(VALU_DEP_2)
	v_add_f32_e32 v4, v4, v5
	s_add_i32 s0, s0, -1
	v_dual_add_f32 v3, v3, v6 :: v_dual_add_f32 v2, v2, v7
	s_cmp_lg_u32 s0, 0
	s_barrier
	buffer_gl0_inv
	s_cbranch_scc0 .LBB7_5
.LBB7_3:                                ; =>This Inner Loop Header: Depth=1
	s_waitcnt vmcnt(2)
	v_mov_b32_e32 v5, v4
	s_waitcnt vmcnt(0)
	ds_store_b32 v1, v2
	s_waitcnt lgkmcnt(0)
	s_barrier
	buffer_gl0_inv
	s_and_saveexec_b32 s1, vcc_lo
	s_cbranch_execz .LBB7_2
; %bb.4:                                ;   in Loop: Header=BB7_3 Depth=1
	ds_load_b32 v5, v0
	s_waitcnt lgkmcnt(0)
	v_sub_f32_e32 v5, v4, v5
	s_branch .LBB7_2
.LBB7_5:
	s_add_u32 s0, s6, s2
	s_addc_u32 s1, s7, s3
	s_waitcnt vmcnt(2)
	global_store_b32 v1, v4, s[0:1]
	s_waitcnt vmcnt(1)
	global_store_b32 v1, v3, s[0:1] offset:1024
	s_waitcnt vmcnt(0)
	global_store_b32 v1, v2, s[0:1] offset:2048
	s_nop 0
	s_sendmsg sendmsg(MSG_DEALLOC_VGPRS)
	s_endpgm
	.section	.rodata,"a",@progbits
	.p2align	6, 0x0
	.amdhsa_kernel _Z6kernelI13subtract_leftLj256ELj3ELb0EJPfS1_jEEvDpT3_
		.amdhsa_group_segment_fixed_size 2048
		.amdhsa_private_segment_fixed_size 0
		.amdhsa_kernarg_size 20
		.amdhsa_user_sgpr_count 15
		.amdhsa_user_sgpr_dispatch_ptr 0
		.amdhsa_user_sgpr_queue_ptr 0
		.amdhsa_user_sgpr_kernarg_segment_ptr 1
		.amdhsa_user_sgpr_dispatch_id 0
		.amdhsa_user_sgpr_private_segment_size 0
		.amdhsa_wavefront_size32 1
		.amdhsa_uses_dynamic_stack 0
		.amdhsa_enable_private_segment 0
		.amdhsa_system_sgpr_workgroup_id_x 1
		.amdhsa_system_sgpr_workgroup_id_y 0
		.amdhsa_system_sgpr_workgroup_id_z 0
		.amdhsa_system_sgpr_workgroup_info 0
		.amdhsa_system_vgpr_workitem_id 0
		.amdhsa_next_free_vgpr 8
		.amdhsa_next_free_sgpr 16
		.amdhsa_reserve_vcc 1
		.amdhsa_float_round_mode_32 0
		.amdhsa_float_round_mode_16_64 0
		.amdhsa_float_denorm_mode_32 3
		.amdhsa_float_denorm_mode_16_64 3
		.amdhsa_dx10_clamp 1
		.amdhsa_ieee_mode 1
		.amdhsa_fp16_overflow 0
		.amdhsa_workgroup_processor_mode 1
		.amdhsa_memory_ordered 1
		.amdhsa_forward_progress 0
		.amdhsa_shared_vgpr_count 0
		.amdhsa_exception_fp_ieee_invalid_op 0
		.amdhsa_exception_fp_denorm_src 0
		.amdhsa_exception_fp_ieee_div_zero 0
		.amdhsa_exception_fp_ieee_overflow 0
		.amdhsa_exception_fp_ieee_underflow 0
		.amdhsa_exception_fp_ieee_inexact 0
		.amdhsa_exception_int_div_zero 0
	.end_amdhsa_kernel
	.section	.text._Z6kernelI13subtract_leftLj256ELj3ELb0EJPfS1_jEEvDpT3_,"axG",@progbits,_Z6kernelI13subtract_leftLj256ELj3ELb0EJPfS1_jEEvDpT3_,comdat
.Lfunc_end7:
	.size	_Z6kernelI13subtract_leftLj256ELj3ELb0EJPfS1_jEEvDpT3_, .Lfunc_end7-_Z6kernelI13subtract_leftLj256ELj3ELb0EJPfS1_jEEvDpT3_
                                        ; -- End function
	.section	.AMDGPU.csdata,"",@progbits
; Kernel info:
; codeLenInByte = 268
; NumSgprs: 18
; NumVgprs: 8
; ScratchSize: 0
; MemoryBound: 0
; FloatMode: 240
; IeeeMode: 1
; LDSByteSize: 2048 bytes/workgroup (compile time only)
; SGPRBlocks: 2
; VGPRBlocks: 0
; NumSGPRsForWavesPerEU: 18
; NumVGPRsForWavesPerEU: 8
; Occupancy: 16
; WaveLimiterHint : 1
; COMPUTE_PGM_RSRC2:SCRATCH_EN: 0
; COMPUTE_PGM_RSRC2:USER_SGPR: 15
; COMPUTE_PGM_RSRC2:TRAP_HANDLER: 0
; COMPUTE_PGM_RSRC2:TGID_X_EN: 1
; COMPUTE_PGM_RSRC2:TGID_Y_EN: 0
; COMPUTE_PGM_RSRC2:TGID_Z_EN: 0
; COMPUTE_PGM_RSRC2:TIDIG_COMP_CNT: 0
	.section	.text._Z6kernelI13subtract_leftLj256ELj4ELb0EJPfS1_jEEvDpT3_,"axG",@progbits,_Z6kernelI13subtract_leftLj256ELj4ELb0EJPfS1_jEEvDpT3_,comdat
	.protected	_Z6kernelI13subtract_leftLj256ELj4ELb0EJPfS1_jEEvDpT3_ ; -- Begin function _Z6kernelI13subtract_leftLj256ELj4ELb0EJPfS1_jEEvDpT3_
	.globl	_Z6kernelI13subtract_leftLj256ELj4ELb0EJPfS1_jEEvDpT3_
	.p2align	8
	.type	_Z6kernelI13subtract_leftLj256ELj4ELb0EJPfS1_jEEvDpT3_,@function
_Z6kernelI13subtract_leftLj256ELj4ELb0EJPfS1_jEEvDpT3_: ; @_Z6kernelI13subtract_leftLj256ELj4ELb0EJPfS1_jEEvDpT3_
; %bb.0:
	s_load_b128 s[4:7], s[0:1], 0x0
	s_mov_b32 s3, 0
	s_lshl_b32 s2, s15, 10
	v_lshlrev_b32_e32 v1, 2, v0
	s_lshl_b64 s[2:3], s[2:3], 2
	s_load_b32 s0, s[0:1], 0x10
	s_waitcnt lgkmcnt(0)
	s_add_u32 s4, s4, s2
	s_addc_u32 s5, s5, s3
	s_clause 0x3
	global_load_b32 v5, v1, s[4:5]
	global_load_b32 v4, v1, s[4:5] offset:1024
	global_load_b32 v3, v1, s[4:5] offset:2048
	;; [unrolled: 1-line block ×3, first 2 shown]
	s_cmp_eq_u32 s0, 0
	s_cbranch_scc1 .LBB8_5
; %bb.1:
	v_cmp_ne_u32_e32 vcc_lo, 0, v0
	v_add_nc_u32_e32 v0, -4, v1
	s_branch .LBB8_3
	.p2align	6
.LBB8_2:                                ;   in Loop: Header=BB8_3 Depth=1
	s_or_b32 exec_lo, exec_lo, s1
	v_dual_sub_f32 v7, v4, v5 :: v_dual_sub_f32 v8, v3, v4
	v_sub_f32_e32 v9, v2, v3
	v_add_f32_e32 v5, v5, v6
	s_add_i32 s0, s0, -1
	s_delay_alu instid0(VALU_DEP_3) | instskip(NEXT) | instid1(VALU_DEP_3)
	v_dual_add_f32 v4, v4, v7 :: v_dual_add_f32 v3, v3, v8
	v_add_f32_e32 v2, v2, v9
	s_cmp_lg_u32 s0, 0
	s_barrier
	buffer_gl0_inv
	s_cbranch_scc0 .LBB8_5
.LBB8_3:                                ; =>This Inner Loop Header: Depth=1
	s_waitcnt vmcnt(3)
	v_mov_b32_e32 v6, v5
	s_waitcnt vmcnt(0)
	ds_store_b32 v1, v2
	s_waitcnt lgkmcnt(0)
	s_barrier
	buffer_gl0_inv
	s_and_saveexec_b32 s1, vcc_lo
	s_cbranch_execz .LBB8_2
; %bb.4:                                ;   in Loop: Header=BB8_3 Depth=1
	ds_load_b32 v6, v0
	s_waitcnt lgkmcnt(0)
	v_sub_f32_e32 v6, v5, v6
	s_branch .LBB8_2
.LBB8_5:
	s_add_u32 s0, s6, s2
	s_addc_u32 s1, s7, s3
	s_waitcnt vmcnt(3)
	global_store_b32 v1, v5, s[0:1]
	s_waitcnt vmcnt(2)
	global_store_b32 v1, v4, s[0:1] offset:1024
	s_waitcnt vmcnt(1)
	global_store_b32 v1, v3, s[0:1] offset:2048
	;; [unrolled: 2-line block ×3, first 2 shown]
	s_nop 0
	s_sendmsg sendmsg(MSG_DEALLOC_VGPRS)
	s_endpgm
	.section	.rodata,"a",@progbits
	.p2align	6, 0x0
	.amdhsa_kernel _Z6kernelI13subtract_leftLj256ELj4ELb0EJPfS1_jEEvDpT3_
		.amdhsa_group_segment_fixed_size 2048
		.amdhsa_private_segment_fixed_size 0
		.amdhsa_kernarg_size 20
		.amdhsa_user_sgpr_count 15
		.amdhsa_user_sgpr_dispatch_ptr 0
		.amdhsa_user_sgpr_queue_ptr 0
		.amdhsa_user_sgpr_kernarg_segment_ptr 1
		.amdhsa_user_sgpr_dispatch_id 0
		.amdhsa_user_sgpr_private_segment_size 0
		.amdhsa_wavefront_size32 1
		.amdhsa_uses_dynamic_stack 0
		.amdhsa_enable_private_segment 0
		.amdhsa_system_sgpr_workgroup_id_x 1
		.amdhsa_system_sgpr_workgroup_id_y 0
		.amdhsa_system_sgpr_workgroup_id_z 0
		.amdhsa_system_sgpr_workgroup_info 0
		.amdhsa_system_vgpr_workitem_id 0
		.amdhsa_next_free_vgpr 10
		.amdhsa_next_free_sgpr 16
		.amdhsa_reserve_vcc 1
		.amdhsa_float_round_mode_32 0
		.amdhsa_float_round_mode_16_64 0
		.amdhsa_float_denorm_mode_32 3
		.amdhsa_float_denorm_mode_16_64 3
		.amdhsa_dx10_clamp 1
		.amdhsa_ieee_mode 1
		.amdhsa_fp16_overflow 0
		.amdhsa_workgroup_processor_mode 1
		.amdhsa_memory_ordered 1
		.amdhsa_forward_progress 0
		.amdhsa_shared_vgpr_count 0
		.amdhsa_exception_fp_ieee_invalid_op 0
		.amdhsa_exception_fp_denorm_src 0
		.amdhsa_exception_fp_ieee_div_zero 0
		.amdhsa_exception_fp_ieee_overflow 0
		.amdhsa_exception_fp_ieee_underflow 0
		.amdhsa_exception_fp_ieee_inexact 0
		.amdhsa_exception_int_div_zero 0
	.end_amdhsa_kernel
	.section	.text._Z6kernelI13subtract_leftLj256ELj4ELb0EJPfS1_jEEvDpT3_,"axG",@progbits,_Z6kernelI13subtract_leftLj256ELj4ELb0EJPfS1_jEEvDpT3_,comdat
.Lfunc_end8:
	.size	_Z6kernelI13subtract_leftLj256ELj4ELb0EJPfS1_jEEvDpT3_, .Lfunc_end8-_Z6kernelI13subtract_leftLj256ELj4ELb0EJPfS1_jEEvDpT3_
                                        ; -- End function
	.section	.AMDGPU.csdata,"",@progbits
; Kernel info:
; codeLenInByte = 292
; NumSgprs: 18
; NumVgprs: 10
; ScratchSize: 0
; MemoryBound: 0
; FloatMode: 240
; IeeeMode: 1
; LDSByteSize: 2048 bytes/workgroup (compile time only)
; SGPRBlocks: 2
; VGPRBlocks: 1
; NumSGPRsForWavesPerEU: 18
; NumVGPRsForWavesPerEU: 10
; Occupancy: 16
; WaveLimiterHint : 1
; COMPUTE_PGM_RSRC2:SCRATCH_EN: 0
; COMPUTE_PGM_RSRC2:USER_SGPR: 15
; COMPUTE_PGM_RSRC2:TRAP_HANDLER: 0
; COMPUTE_PGM_RSRC2:TGID_X_EN: 1
; COMPUTE_PGM_RSRC2:TGID_Y_EN: 0
; COMPUTE_PGM_RSRC2:TGID_Z_EN: 0
; COMPUTE_PGM_RSRC2:TIDIG_COMP_CNT: 0
	.section	.text._Z6kernelI13subtract_leftLj256ELj8ELb0EJPfS1_jEEvDpT3_,"axG",@progbits,_Z6kernelI13subtract_leftLj256ELj8ELb0EJPfS1_jEEvDpT3_,comdat
	.protected	_Z6kernelI13subtract_leftLj256ELj8ELb0EJPfS1_jEEvDpT3_ ; -- Begin function _Z6kernelI13subtract_leftLj256ELj8ELb0EJPfS1_jEEvDpT3_
	.globl	_Z6kernelI13subtract_leftLj256ELj8ELb0EJPfS1_jEEvDpT3_
	.p2align	8
	.type	_Z6kernelI13subtract_leftLj256ELj8ELb0EJPfS1_jEEvDpT3_,@function
_Z6kernelI13subtract_leftLj256ELj8ELb0EJPfS1_jEEvDpT3_: ; @_Z6kernelI13subtract_leftLj256ELj8ELb0EJPfS1_jEEvDpT3_
; %bb.0:
	s_load_b128 s[4:7], s[0:1], 0x0
	s_mov_b32 s3, 0
	s_lshl_b32 s2, s15, 11
	v_lshlrev_b32_e32 v1, 2, v0
	s_lshl_b64 s[2:3], s[2:3], 2
	s_load_b32 s0, s[0:1], 0x10
	s_waitcnt lgkmcnt(0)
	s_add_u32 s4, s4, s2
	s_addc_u32 s5, s5, s3
	v_add_co_u32 v2, s1, s4, v1
	s_delay_alu instid0(VALU_DEP_1) | instskip(SKIP_1) | instid1(VALU_DEP_2)
	v_add_co_ci_u32_e64 v3, null, s5, 0, s1
	s_cmp_eq_u32 s0, 0
	v_add_co_u32 v10, vcc_lo, 0x1000, v2
	s_delay_alu instid0(VALU_DEP_2)
	v_add_co_ci_u32_e32 v11, vcc_lo, 0, v3, vcc_lo
	s_clause 0x7
	global_load_b32 v9, v1, s[4:5]
	global_load_b32 v8, v1, s[4:5] offset:1024
	global_load_b32 v7, v1, s[4:5] offset:2048
	;; [unrolled: 1-line block ×3, first 2 shown]
	global_load_b32 v5, v[10:11], off
	global_load_b32 v4, v[10:11], off offset:1024
	global_load_b32 v3, v[10:11], off offset:2048
	;; [unrolled: 1-line block ×3, first 2 shown]
	s_cbranch_scc1 .LBB9_5
; %bb.1:
	v_cmp_ne_u32_e32 vcc_lo, 0, v0
	v_add_nc_u32_e32 v0, -4, v1
	s_set_inst_prefetch_distance 0x1
	s_branch .LBB9_3
	.p2align	6
.LBB9_2:                                ;   in Loop: Header=BB9_3 Depth=1
	s_or_b32 exec_lo, exec_lo, s1
	v_dual_sub_f32 v11, v2, v3 :: v_dual_sub_f32 v12, v3, v4
	v_dual_sub_f32 v13, v4, v5 :: v_dual_sub_f32 v16, v6, v7
	v_dual_sub_f32 v14, v8, v9 :: v_dual_sub_f32 v15, v7, v8
	v_sub_f32_e32 v17, v5, v6
	s_delay_alu instid0(VALU_DEP_3) | instskip(NEXT) | instid1(VALU_DEP_3)
	v_dual_add_f32 v9, v9, v10 :: v_dual_add_f32 v4, v4, v13
	v_dual_add_f32 v8, v8, v14 :: v_dual_add_f32 v7, v7, v15
	s_delay_alu instid0(VALU_DEP_3) | instskip(SKIP_2) | instid1(SALU_CYCLE_1)
	v_dual_add_f32 v6, v6, v16 :: v_dual_add_f32 v5, v5, v17
	v_dual_add_f32 v2, v2, v11 :: v_dual_add_f32 v3, v3, v12
	s_add_i32 s0, s0, -1
	s_cmp_lg_u32 s0, 0
	s_barrier
	buffer_gl0_inv
	s_cbranch_scc0 .LBB9_5
.LBB9_3:                                ; =>This Inner Loop Header: Depth=1
	s_waitcnt vmcnt(7)
	v_mov_b32_e32 v10, v9
	s_waitcnt vmcnt(0)
	ds_store_b32 v1, v2
	s_waitcnt lgkmcnt(0)
	s_barrier
	buffer_gl0_inv
	s_and_saveexec_b32 s1, vcc_lo
	s_cbranch_execz .LBB9_2
; %bb.4:                                ;   in Loop: Header=BB9_3 Depth=1
	ds_load_b32 v10, v0
	s_waitcnt lgkmcnt(0)
	v_sub_f32_e32 v10, v9, v10
	s_branch .LBB9_2
.LBB9_5:
	s_set_inst_prefetch_distance 0x2
	s_add_u32 s0, s6, s2
	s_addc_u32 s1, s7, s3
	v_add_co_u32 v0, s2, s0, v1
	s_delay_alu instid0(VALU_DEP_1) | instskip(NEXT) | instid1(VALU_DEP_2)
	v_add_co_ci_u32_e64 v11, null, s1, 0, s2
	v_add_co_u32 v10, vcc_lo, 0x1000, v0
	s_delay_alu instid0(VALU_DEP_2)
	v_add_co_ci_u32_e32 v11, vcc_lo, 0, v11, vcc_lo
	s_waitcnt vmcnt(7)
	global_store_b32 v1, v9, s[0:1]
	s_waitcnt vmcnt(6)
	global_store_b32 v1, v8, s[0:1] offset:1024
	s_waitcnt vmcnt(5)
	global_store_b32 v1, v7, s[0:1] offset:2048
	;; [unrolled: 2-line block ×3, first 2 shown]
	s_waitcnt vmcnt(3)
	global_store_b32 v[10:11], v5, off
	s_waitcnt vmcnt(2)
	global_store_b32 v[10:11], v4, off offset:1024
	s_waitcnt vmcnt(1)
	global_store_b32 v[10:11], v3, off offset:2048
	;; [unrolled: 2-line block ×3, first 2 shown]
	s_nop 0
	s_sendmsg sendmsg(MSG_DEALLOC_VGPRS)
	s_endpgm
	.section	.rodata,"a",@progbits
	.p2align	6, 0x0
	.amdhsa_kernel _Z6kernelI13subtract_leftLj256ELj8ELb0EJPfS1_jEEvDpT3_
		.amdhsa_group_segment_fixed_size 2048
		.amdhsa_private_segment_fixed_size 0
		.amdhsa_kernarg_size 20
		.amdhsa_user_sgpr_count 15
		.amdhsa_user_sgpr_dispatch_ptr 0
		.amdhsa_user_sgpr_queue_ptr 0
		.amdhsa_user_sgpr_kernarg_segment_ptr 1
		.amdhsa_user_sgpr_dispatch_id 0
		.amdhsa_user_sgpr_private_segment_size 0
		.amdhsa_wavefront_size32 1
		.amdhsa_uses_dynamic_stack 0
		.amdhsa_enable_private_segment 0
		.amdhsa_system_sgpr_workgroup_id_x 1
		.amdhsa_system_sgpr_workgroup_id_y 0
		.amdhsa_system_sgpr_workgroup_id_z 0
		.amdhsa_system_sgpr_workgroup_info 0
		.amdhsa_system_vgpr_workitem_id 0
		.amdhsa_next_free_vgpr 18
		.amdhsa_next_free_sgpr 16
		.amdhsa_reserve_vcc 1
		.amdhsa_float_round_mode_32 0
		.amdhsa_float_round_mode_16_64 0
		.amdhsa_float_denorm_mode_32 3
		.amdhsa_float_denorm_mode_16_64 3
		.amdhsa_dx10_clamp 1
		.amdhsa_ieee_mode 1
		.amdhsa_fp16_overflow 0
		.amdhsa_workgroup_processor_mode 1
		.amdhsa_memory_ordered 1
		.amdhsa_forward_progress 0
		.amdhsa_shared_vgpr_count 0
		.amdhsa_exception_fp_ieee_invalid_op 0
		.amdhsa_exception_fp_denorm_src 0
		.amdhsa_exception_fp_ieee_div_zero 0
		.amdhsa_exception_fp_ieee_overflow 0
		.amdhsa_exception_fp_ieee_underflow 0
		.amdhsa_exception_fp_ieee_inexact 0
		.amdhsa_exception_int_div_zero 0
	.end_amdhsa_kernel
	.section	.text._Z6kernelI13subtract_leftLj256ELj8ELb0EJPfS1_jEEvDpT3_,"axG",@progbits,_Z6kernelI13subtract_leftLj256ELj8ELb0EJPfS1_jEEvDpT3_,comdat
.Lfunc_end9:
	.size	_Z6kernelI13subtract_leftLj256ELj8ELb0EJPfS1_jEEvDpT3_, .Lfunc_end9-_Z6kernelI13subtract_leftLj256ELj8ELb0EJPfS1_jEEvDpT3_
                                        ; -- End function
	.section	.AMDGPU.csdata,"",@progbits
; Kernel info:
; codeLenInByte = 496
; NumSgprs: 18
; NumVgprs: 18
; ScratchSize: 0
; MemoryBound: 0
; FloatMode: 240
; IeeeMode: 1
; LDSByteSize: 2048 bytes/workgroup (compile time only)
; SGPRBlocks: 2
; VGPRBlocks: 2
; NumSGPRsForWavesPerEU: 18
; NumVGPRsForWavesPerEU: 18
; Occupancy: 16
; WaveLimiterHint : 1
; COMPUTE_PGM_RSRC2:SCRATCH_EN: 0
; COMPUTE_PGM_RSRC2:USER_SGPR: 15
; COMPUTE_PGM_RSRC2:TRAP_HANDLER: 0
; COMPUTE_PGM_RSRC2:TGID_X_EN: 1
; COMPUTE_PGM_RSRC2:TGID_Y_EN: 0
; COMPUTE_PGM_RSRC2:TGID_Z_EN: 0
; COMPUTE_PGM_RSRC2:TIDIG_COMP_CNT: 0
	.section	.text._Z6kernelI13subtract_leftLj256ELj16ELb0EJPfS1_jEEvDpT3_,"axG",@progbits,_Z6kernelI13subtract_leftLj256ELj16ELb0EJPfS1_jEEvDpT3_,comdat
	.protected	_Z6kernelI13subtract_leftLj256ELj16ELb0EJPfS1_jEEvDpT3_ ; -- Begin function _Z6kernelI13subtract_leftLj256ELj16ELb0EJPfS1_jEEvDpT3_
	.globl	_Z6kernelI13subtract_leftLj256ELj16ELb0EJPfS1_jEEvDpT3_
	.p2align	8
	.type	_Z6kernelI13subtract_leftLj256ELj16ELb0EJPfS1_jEEvDpT3_,@function
_Z6kernelI13subtract_leftLj256ELj16ELb0EJPfS1_jEEvDpT3_: ; @_Z6kernelI13subtract_leftLj256ELj16ELb0EJPfS1_jEEvDpT3_
; %bb.0:
	s_load_b128 s[4:7], s[0:1], 0x0
	s_mov_b32 s3, 0
	s_lshl_b32 s2, s15, 12
	v_lshlrev_b32_e32 v1, 2, v0
	s_lshl_b64 s[2:3], s[2:3], 2
	s_load_b32 s0, s[0:1], 0x10
	s_waitcnt lgkmcnt(0)
	s_add_u32 s4, s4, s2
	s_addc_u32 s5, s5, s3
	v_add_co_u32 v6, s1, s4, v1
	s_delay_alu instid0(VALU_DEP_1) | instskip(SKIP_1) | instid1(VALU_DEP_2)
	v_add_co_ci_u32_e64 v7, null, s5, 0, s1
	s_cmp_eq_u32 s0, 0
	v_add_co_u32 v2, vcc_lo, 0x1000, v6
	s_delay_alu instid0(VALU_DEP_2)
	v_add_co_ci_u32_e32 v3, vcc_lo, 0, v7, vcc_lo
	v_add_co_u32 v18, vcc_lo, v6, 0x2000
	v_add_co_ci_u32_e32 v19, vcc_lo, 0, v7, vcc_lo
	v_add_co_u32 v4, vcc_lo, 0x2000, v6
	v_add_co_ci_u32_e32 v5, vcc_lo, 0, v7, vcc_lo
	v_add_co_u32 v20, vcc_lo, 0x3000, v6
	v_add_co_ci_u32_e32 v21, vcc_lo, 0, v7, vcc_lo
	s_clause 0xf
	global_load_b32 v17, v[18:19], off
	global_load_b32 v16, v1, s[4:5]
	global_load_b32 v15, v1, s[4:5] offset:1024
	global_load_b32 v14, v1, s[4:5] offset:2048
	;; [unrolled: 1-line block ×3, first 2 shown]
	global_load_b32 v11, v[2:3], off offset:1024
	global_load_b32 v10, v[2:3], off offset:2048
	;; [unrolled: 1-line block ×6, first 2 shown]
	global_load_b32 v5, v[20:21], off
	global_load_b32 v4, v[20:21], off offset:1024
	global_load_b32 v3, v[20:21], off offset:2048
	global_load_b32 v12, v[18:19], off offset:-4096
	global_load_b32 v2, v[20:21], off offset:3072
	s_cbranch_scc1 .LBB10_5
; %bb.1:
	v_cmp_ne_u32_e32 vcc_lo, 0, v0
	v_add_nc_u32_e32 v0, -4, v1
	s_set_inst_prefetch_distance 0x1
	s_branch .LBB10_3
	.p2align	6
.LBB10_2:                               ;   in Loop: Header=BB10_3 Depth=1
	s_or_b32 exec_lo, exec_lo, s1
	v_dual_sub_f32 v19, v2, v3 :: v_dual_sub_f32 v20, v3, v4
	v_dual_sub_f32 v21, v4, v5 :: v_dual_sub_f32 v22, v5, v6
	;; [unrolled: 1-line block ×7, first 2 shown]
	v_sub_f32_e32 v33, v12, v13
	s_delay_alu instid0(VALU_DEP_4) | instskip(SKIP_1) | instid1(VALU_DEP_4)
	v_dual_add_f32 v16, v16, v18 :: v_dual_add_f32 v11, v11, v29
	v_add_f32_e32 v10, v10, v28
	v_dual_add_f32 v14, v14, v31 :: v_dual_add_f32 v15, v15, v30
	s_delay_alu instid0(VALU_DEP_4)
	v_dual_add_f32 v12, v12, v33 :: v_dual_add_f32 v13, v13, v32
	v_dual_add_f32 v9, v9, v27 :: v_dual_add_f32 v8, v8, v25
	;; [unrolled: 1-line block ×5, first 2 shown]
	v_add_f32_e32 v3, v3, v20
	s_add_i32 s0, s0, -1
	s_delay_alu instid0(SALU_CYCLE_1)
	s_cmp_lg_u32 s0, 0
	s_barrier
	buffer_gl0_inv
	s_cbranch_scc0 .LBB10_5
.LBB10_3:                               ; =>This Inner Loop Header: Depth=1
	s_waitcnt vmcnt(14)
	v_mov_b32_e32 v18, v16
	s_waitcnt vmcnt(0)
	ds_store_b32 v1, v2
	s_waitcnt lgkmcnt(0)
	s_barrier
	buffer_gl0_inv
	s_and_saveexec_b32 s1, vcc_lo
	s_cbranch_execz .LBB10_2
; %bb.4:                                ;   in Loop: Header=BB10_3 Depth=1
	ds_load_b32 v18, v0
	s_waitcnt lgkmcnt(0)
	v_sub_f32_e32 v18, v16, v18
	s_branch .LBB10_2
.LBB10_5:
	s_set_inst_prefetch_distance 0x2
	s_add_u32 s0, s6, s2
	s_addc_u32 s1, s7, s3
	v_add_co_u32 v0, s2, s0, v1
	s_delay_alu instid0(VALU_DEP_1) | instskip(NEXT) | instid1(VALU_DEP_2)
	v_add_co_ci_u32_e64 v25, null, s1, 0, s2
	v_add_co_u32 v18, vcc_lo, 0x1000, v0
	s_delay_alu instid0(VALU_DEP_2)
	v_add_co_ci_u32_e32 v19, vcc_lo, 0, v25, vcc_lo
	v_add_co_u32 v20, vcc_lo, v0, 0x2000
	v_add_co_ci_u32_e32 v21, vcc_lo, 0, v25, vcc_lo
	v_add_co_u32 v22, vcc_lo, 0x2000, v0
	;; [unrolled: 2-line block ×3, first 2 shown]
	s_waitcnt vmcnt(15)
	global_store_b32 v[20:21], v17, off
	v_add_co_ci_u32_e32 v25, vcc_lo, 0, v25, vcc_lo
	s_waitcnt vmcnt(14)
	global_store_b32 v1, v16, s[0:1]
	s_waitcnt vmcnt(13)
	global_store_b32 v1, v15, s[0:1] offset:1024
	s_waitcnt vmcnt(12)
	global_store_b32 v1, v14, s[0:1] offset:2048
	;; [unrolled: 2-line block ×3, first 2 shown]
	s_waitcnt vmcnt(10)
	global_store_b32 v[18:19], v11, off offset:1024
	s_waitcnt vmcnt(9)
	global_store_b32 v[18:19], v10, off offset:2048
	;; [unrolled: 2-line block ×6, first 2 shown]
	s_waitcnt vmcnt(4)
	global_store_b32 v[24:25], v5, off
	s_waitcnt vmcnt(3)
	global_store_b32 v[24:25], v4, off offset:1024
	s_waitcnt vmcnt(2)
	global_store_b32 v[24:25], v3, off offset:2048
	s_waitcnt vmcnt(1)
	global_store_b32 v[20:21], v12, off offset:-4096
	s_waitcnt vmcnt(0)
	global_store_b32 v[24:25], v2, off offset:3072
	s_nop 0
	s_sendmsg sendmsg(MSG_DEALLOC_VGPRS)
	s_endpgm
	.section	.rodata,"a",@progbits
	.p2align	6, 0x0
	.amdhsa_kernel _Z6kernelI13subtract_leftLj256ELj16ELb0EJPfS1_jEEvDpT3_
		.amdhsa_group_segment_fixed_size 2048
		.amdhsa_private_segment_fixed_size 0
		.amdhsa_kernarg_size 20
		.amdhsa_user_sgpr_count 15
		.amdhsa_user_sgpr_dispatch_ptr 0
		.amdhsa_user_sgpr_queue_ptr 0
		.amdhsa_user_sgpr_kernarg_segment_ptr 1
		.amdhsa_user_sgpr_dispatch_id 0
		.amdhsa_user_sgpr_private_segment_size 0
		.amdhsa_wavefront_size32 1
		.amdhsa_uses_dynamic_stack 0
		.amdhsa_enable_private_segment 0
		.amdhsa_system_sgpr_workgroup_id_x 1
		.amdhsa_system_sgpr_workgroup_id_y 0
		.amdhsa_system_sgpr_workgroup_id_z 0
		.amdhsa_system_sgpr_workgroup_info 0
		.amdhsa_system_vgpr_workitem_id 0
		.amdhsa_next_free_vgpr 34
		.amdhsa_next_free_sgpr 16
		.amdhsa_reserve_vcc 1
		.amdhsa_float_round_mode_32 0
		.amdhsa_float_round_mode_16_64 0
		.amdhsa_float_denorm_mode_32 3
		.amdhsa_float_denorm_mode_16_64 3
		.amdhsa_dx10_clamp 1
		.amdhsa_ieee_mode 1
		.amdhsa_fp16_overflow 0
		.amdhsa_workgroup_processor_mode 1
		.amdhsa_memory_ordered 1
		.amdhsa_forward_progress 0
		.amdhsa_shared_vgpr_count 0
		.amdhsa_exception_fp_ieee_invalid_op 0
		.amdhsa_exception_fp_denorm_src 0
		.amdhsa_exception_fp_ieee_div_zero 0
		.amdhsa_exception_fp_ieee_overflow 0
		.amdhsa_exception_fp_ieee_underflow 0
		.amdhsa_exception_fp_ieee_inexact 0
		.amdhsa_exception_int_div_zero 0
	.end_amdhsa_kernel
	.section	.text._Z6kernelI13subtract_leftLj256ELj16ELb0EJPfS1_jEEvDpT3_,"axG",@progbits,_Z6kernelI13subtract_leftLj256ELj16ELb0EJPfS1_jEEvDpT3_,comdat
.Lfunc_end10:
	.size	_Z6kernelI13subtract_leftLj256ELj16ELb0EJPfS1_jEEvDpT3_, .Lfunc_end10-_Z6kernelI13subtract_leftLj256ELj16ELb0EJPfS1_jEEvDpT3_
                                        ; -- End function
	.section	.AMDGPU.csdata,"",@progbits
; Kernel info:
; codeLenInByte = 820
; NumSgprs: 18
; NumVgprs: 34
; ScratchSize: 0
; MemoryBound: 0
; FloatMode: 240
; IeeeMode: 1
; LDSByteSize: 2048 bytes/workgroup (compile time only)
; SGPRBlocks: 2
; VGPRBlocks: 4
; NumSGPRsForWavesPerEU: 18
; NumVGPRsForWavesPerEU: 34
; Occupancy: 16
; WaveLimiterHint : 1
; COMPUTE_PGM_RSRC2:SCRATCH_EN: 0
; COMPUTE_PGM_RSRC2:USER_SGPR: 15
; COMPUTE_PGM_RSRC2:TRAP_HANDLER: 0
; COMPUTE_PGM_RSRC2:TGID_X_EN: 1
; COMPUTE_PGM_RSRC2:TGID_Y_EN: 0
; COMPUTE_PGM_RSRC2:TGID_Z_EN: 0
; COMPUTE_PGM_RSRC2:TIDIG_COMP_CNT: 0
	.section	.text._Z6kernelI13subtract_leftLj256ELj32ELb0EJPfS1_jEEvDpT3_,"axG",@progbits,_Z6kernelI13subtract_leftLj256ELj32ELb0EJPfS1_jEEvDpT3_,comdat
	.protected	_Z6kernelI13subtract_leftLj256ELj32ELb0EJPfS1_jEEvDpT3_ ; -- Begin function _Z6kernelI13subtract_leftLj256ELj32ELb0EJPfS1_jEEvDpT3_
	.globl	_Z6kernelI13subtract_leftLj256ELj32ELb0EJPfS1_jEEvDpT3_
	.p2align	8
	.type	_Z6kernelI13subtract_leftLj256ELj32ELb0EJPfS1_jEEvDpT3_,@function
_Z6kernelI13subtract_leftLj256ELj32ELb0EJPfS1_jEEvDpT3_: ; @_Z6kernelI13subtract_leftLj256ELj32ELb0EJPfS1_jEEvDpT3_
; %bb.0:
	s_load_b128 s[4:7], s[0:1], 0x0
	s_mov_b32 s3, 0
	s_lshl_b32 s2, s15, 13
	v_lshlrev_b32_e32 v1, 2, v0
	s_lshl_b64 s[2:3], s[2:3], 2
	s_load_b32 s0, s[0:1], 0x10
	s_waitcnt lgkmcnt(0)
	s_add_u32 s4, s4, s2
	s_addc_u32 s5, s5, s3
	v_add_co_u32 v10, s1, s4, v1
	s_delay_alu instid0(VALU_DEP_1) | instskip(SKIP_1) | instid1(VALU_DEP_2)
	v_add_co_ci_u32_e64 v11, null, s5, 0, s1
	s_cmp_eq_u32 s0, 0
	v_add_co_u32 v2, vcc_lo, 0x1000, v10
	s_delay_alu instid0(VALU_DEP_2)
	v_add_co_ci_u32_e32 v3, vcc_lo, 0, v11, vcc_lo
	v_add_co_u32 v34, vcc_lo, v10, 0x2000
	v_add_co_ci_u32_e32 v35, vcc_lo, 0, v11, vcc_lo
	v_add_co_u32 v4, vcc_lo, 0x2000, v10
	v_add_co_ci_u32_e32 v5, vcc_lo, 0, v11, vcc_lo
	s_clause 0x7
	global_load_b32 v33, v1, s[4:5]
	global_load_b32 v32, v1, s[4:5] offset:1024
	global_load_b32 v31, v1, s[4:5] offset:2048
	;; [unrolled: 1-line block ×3, first 2 shown]
	global_load_b32 v28, v[2:3], off offset:1024
	global_load_b32 v27, v[2:3], off offset:2048
	;; [unrolled: 1-line block ×4, first 2 shown]
	v_add_co_u32 v2, vcc_lo, 0x3000, v10
	v_add_co_ci_u32_e32 v3, vcc_lo, 0, v11, vcc_lo
	v_add_co_u32 v6, vcc_lo, v10, 0x4000
	v_add_co_ci_u32_e32 v7, vcc_lo, 0, v11, vcc_lo
	;; [unrolled: 2-line block ×3, first 2 shown]
	s_clause 0x7
	global_load_b32 v23, v[4:5], off offset:2048
	global_load_b32 v22, v[4:5], off offset:3072
	;; [unrolled: 1-line block ×8, first 2 shown]
	v_add_co_u32 v2, vcc_lo, 0x5000, v10
	v_add_co_ci_u32_e32 v3, vcc_lo, 0, v11, vcc_lo
	v_add_co_u32 v4, vcc_lo, v10, 0x6000
	v_add_co_ci_u32_e32 v5, vcc_lo, 0, v11, vcc_lo
	;; [unrolled: 2-line block ×3, first 2 shown]
	v_add_co_u32 v38, vcc_lo, 0x7000, v10
	s_clause 0x4
	global_load_b32 v25, v[34:35], off
	global_load_b32 v21, v[6:7], off offset:-4096
	global_load_b32 v17, v[6:7], off
	global_load_b32 v13, v[4:5], off offset:-4096
	global_load_b32 v9, v[4:5], off
	v_add_co_ci_u32_e32 v39, vcc_lo, 0, v11, vcc_lo
	s_clause 0xa
	global_load_b32 v12, v[2:3], off offset:1024
	global_load_b32 v11, v[2:3], off offset:2048
	;; [unrolled: 1-line block ×6, first 2 shown]
	global_load_b32 v5, v[38:39], off
	global_load_b32 v4, v[38:39], off offset:1024
	global_load_b32 v3, v[38:39], off offset:2048
	global_load_b32 v29, v[34:35], off offset:-4096
	global_load_b32 v2, v[38:39], off offset:3072
	s_cbranch_scc1 .LBB11_5
; %bb.1:
	v_cmp_ne_u32_e32 vcc_lo, 0, v0
	v_add_nc_u32_e32 v0, -4, v1
	s_branch .LBB11_3
.LBB11_2:                               ;   in Loop: Header=BB11_3 Depth=1
	s_or_b32 exec_lo, exec_lo, s1
	v_dual_sub_f32 v35, v2, v3 :: v_dual_sub_f32 v36, v3, v4
	v_dual_sub_f32 v37, v4, v5 :: v_dual_sub_f32 v38, v5, v6
	;; [unrolled: 1-line block ×15, first 2 shown]
	v_sub_f32_e32 v65, v29, v30
	s_delay_alu instid0(VALU_DEP_3) | instskip(NEXT) | instid1(VALU_DEP_3)
	v_dual_add_f32 v33, v33, v34 :: v_dual_add_f32 v28, v28, v61
	v_dual_add_f32 v32, v32, v62 :: v_dual_add_f32 v31, v31, v63
	s_delay_alu instid0(VALU_DEP_3)
	v_dual_add_f32 v30, v30, v64 :: v_dual_add_f32 v29, v29, v65
	v_dual_add_f32 v26, v26, v59 :: v_dual_add_f32 v27, v27, v60
	;; [unrolled: 1-line block ×14, first 2 shown]
	s_add_i32 s0, s0, -1
	s_delay_alu instid0(SALU_CYCLE_1)
	s_cmp_lg_u32 s0, 0
	s_barrier
	buffer_gl0_inv
	s_cbranch_scc0 .LBB11_5
.LBB11_3:                               ; =>This Inner Loop Header: Depth=1
	s_waitcnt vmcnt(31)
	v_mov_b32_e32 v34, v33
	s_waitcnt vmcnt(0)
	ds_store_b32 v1, v2
	s_waitcnt lgkmcnt(0)
	s_barrier
	buffer_gl0_inv
	s_and_saveexec_b32 s1, vcc_lo
	s_cbranch_execz .LBB11_2
; %bb.4:                                ;   in Loop: Header=BB11_3 Depth=1
	ds_load_b32 v34, v0
	s_waitcnt lgkmcnt(0)
	v_sub_f32_e32 v34, v33, v34
	s_branch .LBB11_2
.LBB11_5:
	s_add_u32 s0, s6, s2
	s_addc_u32 s1, s7, s3
	v_add_co_u32 v40, s2, s0, v1
	s_delay_alu instid0(VALU_DEP_1) | instskip(NEXT) | instid1(VALU_DEP_2)
	v_add_co_ci_u32_e64 v41, null, s1, 0, s2
	v_add_co_u32 v34, vcc_lo, 0x1000, v40
	s_delay_alu instid0(VALU_DEP_2)
	v_add_co_ci_u32_e32 v35, vcc_lo, 0, v41, vcc_lo
	v_add_co_u32 v36, vcc_lo, v40, 0x2000
	v_add_co_ci_u32_e32 v37, vcc_lo, 0, v41, vcc_lo
	v_add_co_u32 v38, vcc_lo, 0x2000, v40
	v_add_co_ci_u32_e32 v39, vcc_lo, 0, v41, vcc_lo
	v_add_co_u32 v0, vcc_lo, 0x3000, v40
	s_waitcnt vmcnt(31)
	global_store_b32 v1, v33, s[0:1]
	s_waitcnt vmcnt(30)
	global_store_b32 v1, v32, s[0:1] offset:1024
	s_waitcnt vmcnt(29)
	global_store_b32 v1, v31, s[0:1] offset:2048
	;; [unrolled: 2-line block ×3, first 2 shown]
	s_waitcnt vmcnt(27)
	global_store_b32 v[34:35], v28, off offset:1024
	s_waitcnt vmcnt(26)
	global_store_b32 v[34:35], v27, off offset:2048
	;; [unrolled: 2-line block ×4, first 2 shown]
	v_add_co_ci_u32_e32 v1, vcc_lo, 0, v41, vcc_lo
	v_add_co_u32 v26, vcc_lo, v40, 0x4000
	v_add_co_ci_u32_e32 v27, vcc_lo, 0, v41, vcc_lo
	v_add_co_u32 v30, vcc_lo, 0x4000, v40
	v_add_co_ci_u32_e32 v31, vcc_lo, 0, v41, vcc_lo
	s_waitcnt vmcnt(23)
	global_store_b32 v[38:39], v23, off offset:2048
	s_waitcnt vmcnt(22)
	global_store_b32 v[38:39], v22, off offset:3072
	;; [unrolled: 2-line block ×8, first 2 shown]
	v_add_co_u32 v0, vcc_lo, 0x5000, v40
	v_add_co_ci_u32_e32 v1, vcc_lo, 0, v41, vcc_lo
	v_add_co_u32 v14, vcc_lo, v40, 0x6000
	v_add_co_ci_u32_e32 v15, vcc_lo, 0, v41, vcc_lo
	;; [unrolled: 2-line block ×3, first 2 shown]
	s_waitcnt vmcnt(15)
	global_store_b32 v[36:37], v25, off
	s_waitcnt vmcnt(14)
	global_store_b32 v[26:27], v21, off offset:-4096
	s_waitcnt vmcnt(13)
	global_store_b32 v[26:27], v17, off
	s_waitcnt vmcnt(12)
	global_store_b32 v[14:15], v13, off offset:-4096
	s_waitcnt vmcnt(11)
	global_store_b32 v[14:15], v9, off
	v_add_co_u32 v13, vcc_lo, 0x7000, v40
	v_add_co_ci_u32_e32 v14, vcc_lo, 0, v41, vcc_lo
	s_waitcnt vmcnt(10)
	global_store_b32 v[0:1], v12, off offset:1024
	s_waitcnt vmcnt(9)
	global_store_b32 v[0:1], v11, off offset:2048
	;; [unrolled: 2-line block ×6, first 2 shown]
	s_waitcnt vmcnt(4)
	global_store_b32 v[13:14], v5, off
	s_waitcnt vmcnt(3)
	global_store_b32 v[13:14], v4, off offset:1024
	s_waitcnt vmcnt(2)
	global_store_b32 v[13:14], v3, off offset:2048
	s_waitcnt vmcnt(1)
	global_store_b32 v[36:37], v29, off offset:-4096
	s_waitcnt vmcnt(0)
	global_store_b32 v[13:14], v2, off offset:3072
	s_nop 0
	s_sendmsg sendmsg(MSG_DEALLOC_VGPRS)
	s_endpgm
	.section	.rodata,"a",@progbits
	.p2align	6, 0x0
	.amdhsa_kernel _Z6kernelI13subtract_leftLj256ELj32ELb0EJPfS1_jEEvDpT3_
		.amdhsa_group_segment_fixed_size 2048
		.amdhsa_private_segment_fixed_size 0
		.amdhsa_kernarg_size 20
		.amdhsa_user_sgpr_count 15
		.amdhsa_user_sgpr_dispatch_ptr 0
		.amdhsa_user_sgpr_queue_ptr 0
		.amdhsa_user_sgpr_kernarg_segment_ptr 1
		.amdhsa_user_sgpr_dispatch_id 0
		.amdhsa_user_sgpr_private_segment_size 0
		.amdhsa_wavefront_size32 1
		.amdhsa_uses_dynamic_stack 0
		.amdhsa_enable_private_segment 0
		.amdhsa_system_sgpr_workgroup_id_x 1
		.amdhsa_system_sgpr_workgroup_id_y 0
		.amdhsa_system_sgpr_workgroup_id_z 0
		.amdhsa_system_sgpr_workgroup_info 0
		.amdhsa_system_vgpr_workitem_id 0
		.amdhsa_next_free_vgpr 66
		.amdhsa_next_free_sgpr 16
		.amdhsa_reserve_vcc 1
		.amdhsa_float_round_mode_32 0
		.amdhsa_float_round_mode_16_64 0
		.amdhsa_float_denorm_mode_32 3
		.amdhsa_float_denorm_mode_16_64 3
		.amdhsa_dx10_clamp 1
		.amdhsa_ieee_mode 1
		.amdhsa_fp16_overflow 0
		.amdhsa_workgroup_processor_mode 1
		.amdhsa_memory_ordered 1
		.amdhsa_forward_progress 0
		.amdhsa_shared_vgpr_count 0
		.amdhsa_exception_fp_ieee_invalid_op 0
		.amdhsa_exception_fp_denorm_src 0
		.amdhsa_exception_fp_ieee_div_zero 0
		.amdhsa_exception_fp_ieee_overflow 0
		.amdhsa_exception_fp_ieee_underflow 0
		.amdhsa_exception_fp_ieee_inexact 0
		.amdhsa_exception_int_div_zero 0
	.end_amdhsa_kernel
	.section	.text._Z6kernelI13subtract_leftLj256ELj32ELb0EJPfS1_jEEvDpT3_,"axG",@progbits,_Z6kernelI13subtract_leftLj256ELj32ELb0EJPfS1_jEEvDpT3_,comdat
.Lfunc_end11:
	.size	_Z6kernelI13subtract_leftLj256ELj32ELb0EJPfS1_jEEvDpT3_, .Lfunc_end11-_Z6kernelI13subtract_leftLj256ELj32ELb0EJPfS1_jEEvDpT3_
                                        ; -- End function
	.section	.AMDGPU.csdata,"",@progbits
; Kernel info:
; codeLenInByte = 1464
; NumSgprs: 18
; NumVgprs: 66
; ScratchSize: 0
; MemoryBound: 0
; FloatMode: 240
; IeeeMode: 1
; LDSByteSize: 2048 bytes/workgroup (compile time only)
; SGPRBlocks: 2
; VGPRBlocks: 8
; NumSGPRsForWavesPerEU: 18
; NumVGPRsForWavesPerEU: 66
; Occupancy: 16
; WaveLimiterHint : 1
; COMPUTE_PGM_RSRC2:SCRATCH_EN: 0
; COMPUTE_PGM_RSRC2:USER_SGPR: 15
; COMPUTE_PGM_RSRC2:TRAP_HANDLER: 0
; COMPUTE_PGM_RSRC2:TGID_X_EN: 1
; COMPUTE_PGM_RSRC2:TGID_Y_EN: 0
; COMPUTE_PGM_RSRC2:TGID_Z_EN: 0
; COMPUTE_PGM_RSRC2:TIDIG_COMP_CNT: 0
	.section	.text._Z6kernelI13subtract_leftLj256ELj1ELb0EJPaS1_jEEvDpT3_,"axG",@progbits,_Z6kernelI13subtract_leftLj256ELj1ELb0EJPaS1_jEEvDpT3_,comdat
	.protected	_Z6kernelI13subtract_leftLj256ELj1ELb0EJPaS1_jEEvDpT3_ ; -- Begin function _Z6kernelI13subtract_leftLj256ELj1ELb0EJPaS1_jEEvDpT3_
	.globl	_Z6kernelI13subtract_leftLj256ELj1ELb0EJPaS1_jEEvDpT3_
	.p2align	8
	.type	_Z6kernelI13subtract_leftLj256ELj1ELb0EJPaS1_jEEvDpT3_,@function
_Z6kernelI13subtract_leftLj256ELj1ELb0EJPaS1_jEEvDpT3_: ; @_Z6kernelI13subtract_leftLj256ELj1ELb0EJPaS1_jEEvDpT3_
; %bb.0:
	s_load_b128 s[4:7], s[0:1], 0x0
	s_lshl_b32 s2, s15, 8
	s_load_b32 s0, s[0:1], 0x10
	s_waitcnt lgkmcnt(0)
	s_add_u32 s4, s4, s2
	s_addc_u32 s5, s5, 0
	s_cmp_eq_u32 s0, 0
	global_load_u8 v1, v0, s[4:5]
	s_cbranch_scc1 .LBB12_5
; %bb.1:
	v_cmp_ne_u32_e32 vcc_lo, 0, v0
	v_add_nc_u32_e32 v2, -1, v0
	s_branch .LBB12_3
	.p2align	6
.LBB12_2:                               ;   in Loop: Header=BB12_3 Depth=1
	s_or_b32 exec_lo, exec_lo, s1
	s_delay_alu instid0(VALU_DEP_1) | instskip(SKIP_1) | instid1(SALU_CYCLE_1)
	v_add_nc_u16 v1, v3, v1
	s_add_i32 s0, s0, -1
	s_cmp_lg_u32 s0, 0
	s_barrier
	buffer_gl0_inv
	s_cbranch_scc0 .LBB12_5
.LBB12_3:                               ; =>This Inner Loop Header: Depth=1
	s_waitcnt vmcnt(0)
	v_mov_b32_e32 v3, v1
	ds_store_b8 v0, v1
	s_waitcnt lgkmcnt(0)
	s_barrier
	buffer_gl0_inv
	s_and_saveexec_b32 s1, vcc_lo
	s_cbranch_execz .LBB12_2
; %bb.4:                                ;   in Loop: Header=BB12_3 Depth=1
	ds_load_u8 v3, v2
	s_waitcnt lgkmcnt(0)
	v_sub_nc_u16 v3, v1, v3
	s_branch .LBB12_2
.LBB12_5:
	s_add_u32 s0, s6, s2
	s_addc_u32 s1, s7, 0
	v_add_co_u32 v2, s0, s0, v0
	s_delay_alu instid0(VALU_DEP_1)
	v_add_co_ci_u32_e64 v3, null, s1, 0, s0
	s_waitcnt vmcnt(0)
	global_store_b8 v[2:3], v1, off
	s_nop 0
	s_sendmsg sendmsg(MSG_DEALLOC_VGPRS)
	s_endpgm
	.section	.rodata,"a",@progbits
	.p2align	6, 0x0
	.amdhsa_kernel _Z6kernelI13subtract_leftLj256ELj1ELb0EJPaS1_jEEvDpT3_
		.amdhsa_group_segment_fixed_size 512
		.amdhsa_private_segment_fixed_size 0
		.amdhsa_kernarg_size 20
		.amdhsa_user_sgpr_count 15
		.amdhsa_user_sgpr_dispatch_ptr 0
		.amdhsa_user_sgpr_queue_ptr 0
		.amdhsa_user_sgpr_kernarg_segment_ptr 1
		.amdhsa_user_sgpr_dispatch_id 0
		.amdhsa_user_sgpr_private_segment_size 0
		.amdhsa_wavefront_size32 1
		.amdhsa_uses_dynamic_stack 0
		.amdhsa_enable_private_segment 0
		.amdhsa_system_sgpr_workgroup_id_x 1
		.amdhsa_system_sgpr_workgroup_id_y 0
		.amdhsa_system_sgpr_workgroup_id_z 0
		.amdhsa_system_sgpr_workgroup_info 0
		.amdhsa_system_vgpr_workitem_id 0
		.amdhsa_next_free_vgpr 4
		.amdhsa_next_free_sgpr 16
		.amdhsa_reserve_vcc 1
		.amdhsa_float_round_mode_32 0
		.amdhsa_float_round_mode_16_64 0
		.amdhsa_float_denorm_mode_32 3
		.amdhsa_float_denorm_mode_16_64 3
		.amdhsa_dx10_clamp 1
		.amdhsa_ieee_mode 1
		.amdhsa_fp16_overflow 0
		.amdhsa_workgroup_processor_mode 1
		.amdhsa_memory_ordered 1
		.amdhsa_forward_progress 0
		.amdhsa_shared_vgpr_count 0
		.amdhsa_exception_fp_ieee_invalid_op 0
		.amdhsa_exception_fp_denorm_src 0
		.amdhsa_exception_fp_ieee_div_zero 0
		.amdhsa_exception_fp_ieee_overflow 0
		.amdhsa_exception_fp_ieee_underflow 0
		.amdhsa_exception_fp_ieee_inexact 0
		.amdhsa_exception_int_div_zero 0
	.end_amdhsa_kernel
	.section	.text._Z6kernelI13subtract_leftLj256ELj1ELb0EJPaS1_jEEvDpT3_,"axG",@progbits,_Z6kernelI13subtract_leftLj256ELj1ELb0EJPaS1_jEEvDpT3_,comdat
.Lfunc_end12:
	.size	_Z6kernelI13subtract_leftLj256ELj1ELb0EJPaS1_jEEvDpT3_, .Lfunc_end12-_Z6kernelI13subtract_leftLj256ELj1ELb0EJPaS1_jEEvDpT3_
                                        ; -- End function
	.section	.AMDGPU.csdata,"",@progbits
; Kernel info:
; codeLenInByte = 216
; NumSgprs: 18
; NumVgprs: 4
; ScratchSize: 0
; MemoryBound: 0
; FloatMode: 240
; IeeeMode: 1
; LDSByteSize: 512 bytes/workgroup (compile time only)
; SGPRBlocks: 2
; VGPRBlocks: 0
; NumSGPRsForWavesPerEU: 18
; NumVGPRsForWavesPerEU: 4
; Occupancy: 16
; WaveLimiterHint : 0
; COMPUTE_PGM_RSRC2:SCRATCH_EN: 0
; COMPUTE_PGM_RSRC2:USER_SGPR: 15
; COMPUTE_PGM_RSRC2:TRAP_HANDLER: 0
; COMPUTE_PGM_RSRC2:TGID_X_EN: 1
; COMPUTE_PGM_RSRC2:TGID_Y_EN: 0
; COMPUTE_PGM_RSRC2:TGID_Z_EN: 0
; COMPUTE_PGM_RSRC2:TIDIG_COMP_CNT: 0
	.section	.text._Z6kernelI13subtract_leftLj256ELj3ELb0EJPaS1_jEEvDpT3_,"axG",@progbits,_Z6kernelI13subtract_leftLj256ELj3ELb0EJPaS1_jEEvDpT3_,comdat
	.protected	_Z6kernelI13subtract_leftLj256ELj3ELb0EJPaS1_jEEvDpT3_ ; -- Begin function _Z6kernelI13subtract_leftLj256ELj3ELb0EJPaS1_jEEvDpT3_
	.globl	_Z6kernelI13subtract_leftLj256ELj3ELb0EJPaS1_jEEvDpT3_
	.p2align	8
	.type	_Z6kernelI13subtract_leftLj256ELj3ELb0EJPaS1_jEEvDpT3_,@function
_Z6kernelI13subtract_leftLj256ELj3ELb0EJPaS1_jEEvDpT3_: ; @_Z6kernelI13subtract_leftLj256ELj3ELb0EJPaS1_jEEvDpT3_
; %bb.0:
	s_load_b128 s[4:7], s[0:1], 0x0
	s_mul_i32 s2, s15, 0x300
	s_load_b32 s0, s[0:1], 0x10
	s_waitcnt lgkmcnt(0)
	s_add_u32 s4, s4, s2
	s_addc_u32 s5, s5, 0
	s_cmp_eq_u32 s0, 0
	s_clause 0x2
	global_load_u8 v1, v0, s[4:5] offset:256
	global_load_u8 v2, v0, s[4:5]
	global_load_u8 v3, v0, s[4:5] offset:512
	s_waitcnt vmcnt(2)
	v_lshlrev_b16 v1, 8, v1
	s_waitcnt vmcnt(1)
	s_delay_alu instid0(VALU_DEP_1) | instskip(NEXT) | instid1(VALU_DEP_1)
	v_or_b32_e32 v1, v2, v1
	v_and_b32_e32 v1, 0xffff, v1
	s_waitcnt vmcnt(0)
	s_delay_alu instid0(VALU_DEP_1)
	v_lshl_or_b32 v1, v3, 16, v1
	s_cbranch_scc1 .LBB13_5
; %bb.1:
	v_cmp_ne_u32_e32 vcc_lo, 0, v0
	v_add_nc_u32_e32 v2, -1, v0
	s_branch .LBB13_3
.LBB13_2:                               ;   in Loop: Header=BB13_3 Depth=1
	s_or_b32 exec_lo, exec_lo, s1
	s_delay_alu instid0(VALU_DEP_1) | instskip(SKIP_3) | instid1(VALU_DEP_3)
	v_lshrrev_b32_e32 v6, 8, v5
	v_lshrrev_b32_e32 v7, 16, v5
	v_add_nc_u16 v1, v5, v1
	s_add_i32 s0, s0, -1
	v_add_nc_u16 v3, v6, v3
	s_delay_alu instid0(VALU_DEP_3) | instskip(NEXT) | instid1(VALU_DEP_3)
	v_add_nc_u16 v4, v7, v4
	v_and_b32_e32 v1, 0xff, v1
	s_cmp_lg_u32 s0, 0
	s_barrier
	v_lshlrev_b16 v3, 8, v3
	v_and_b32_e32 v4, 0xff, v4
	buffer_gl0_inv
	v_or_b32_e32 v1, v1, v3
	v_lshlrev_b32_e32 v3, 16, v4
	s_delay_alu instid0(VALU_DEP_2) | instskip(NEXT) | instid1(VALU_DEP_1)
	v_and_b32_e32 v1, 0xffff, v1
	v_or_b32_e32 v1, v1, v3
	s_cbranch_scc0 .LBB13_5
.LBB13_3:                               ; =>This Inner Loop Header: Depth=1
	s_delay_alu instid0(VALU_DEP_1) | instskip(SKIP_2) | instid1(VALU_DEP_3)
	v_lshrrev_b32_e32 v3, 8, v1
	v_lshrrev_b32_e32 v4, 16, v1
	v_and_b32_e32 v6, 0xff, v1
	v_sub_nc_u16 v5, v3, v1
	s_delay_alu instid0(VALU_DEP_3)
	v_sub_nc_u16 v7, v4, v3
	ds_store_b8 v0, v4
	s_waitcnt lgkmcnt(0)
	s_barrier
	v_lshlrev_b16 v5, 8, v5
	buffer_gl0_inv
	v_or_b32_e32 v5, v6, v5
	v_and_b32_e32 v6, 0xff, v7
	s_delay_alu instid0(VALU_DEP_2) | instskip(NEXT) | instid1(VALU_DEP_2)
	v_and_b32_e32 v5, 0xffff, v5
	v_lshlrev_b32_e32 v6, 16, v6
	s_delay_alu instid0(VALU_DEP_1)
	v_or_b32_e32 v5, v5, v6
	s_and_saveexec_b32 s1, vcc_lo
	s_cbranch_execz .LBB13_2
; %bb.4:                                ;   in Loop: Header=BB13_3 Depth=1
	ds_load_u8 v6, v2
	s_waitcnt lgkmcnt(0)
	v_sub_nc_u16 v6, v1, v6
	s_delay_alu instid0(VALU_DEP_1)
	v_perm_b32 v5, v6, v5, 0x3020104
	s_branch .LBB13_2
.LBB13_5:
	s_add_u32 s0, s6, s2
	s_addc_u32 s1, s7, 0
	v_add_co_u32 v2, s0, s0, v0
	s_delay_alu instid0(VALU_DEP_1)
	v_add_co_ci_u32_e64 v3, null, s1, 0, s0
	v_lshrrev_b32_e32 v0, 8, v1
	s_clause 0x2
	global_store_b8 v[2:3], v1, off
	global_store_b8 v[2:3], v0, off offset:256
	global_store_d16_hi_b8 v[2:3], v1, off offset:512
	s_nop 0
	s_sendmsg sendmsg(MSG_DEALLOC_VGPRS)
	s_endpgm
	.section	.rodata,"a",@progbits
	.p2align	6, 0x0
	.amdhsa_kernel _Z6kernelI13subtract_leftLj256ELj3ELb0EJPaS1_jEEvDpT3_
		.amdhsa_group_segment_fixed_size 512
		.amdhsa_private_segment_fixed_size 0
		.amdhsa_kernarg_size 20
		.amdhsa_user_sgpr_count 15
		.amdhsa_user_sgpr_dispatch_ptr 0
		.amdhsa_user_sgpr_queue_ptr 0
		.amdhsa_user_sgpr_kernarg_segment_ptr 1
		.amdhsa_user_sgpr_dispatch_id 0
		.amdhsa_user_sgpr_private_segment_size 0
		.amdhsa_wavefront_size32 1
		.amdhsa_uses_dynamic_stack 0
		.amdhsa_enable_private_segment 0
		.amdhsa_system_sgpr_workgroup_id_x 1
		.amdhsa_system_sgpr_workgroup_id_y 0
		.amdhsa_system_sgpr_workgroup_id_z 0
		.amdhsa_system_sgpr_workgroup_info 0
		.amdhsa_system_vgpr_workitem_id 0
		.amdhsa_next_free_vgpr 8
		.amdhsa_next_free_sgpr 16
		.amdhsa_reserve_vcc 1
		.amdhsa_float_round_mode_32 0
		.amdhsa_float_round_mode_16_64 0
		.amdhsa_float_denorm_mode_32 3
		.amdhsa_float_denorm_mode_16_64 3
		.amdhsa_dx10_clamp 1
		.amdhsa_ieee_mode 1
		.amdhsa_fp16_overflow 0
		.amdhsa_workgroup_processor_mode 1
		.amdhsa_memory_ordered 1
		.amdhsa_forward_progress 0
		.amdhsa_shared_vgpr_count 0
		.amdhsa_exception_fp_ieee_invalid_op 0
		.amdhsa_exception_fp_denorm_src 0
		.amdhsa_exception_fp_ieee_div_zero 0
		.amdhsa_exception_fp_ieee_overflow 0
		.amdhsa_exception_fp_ieee_underflow 0
		.amdhsa_exception_fp_ieee_inexact 0
		.amdhsa_exception_int_div_zero 0
	.end_amdhsa_kernel
	.section	.text._Z6kernelI13subtract_leftLj256ELj3ELb0EJPaS1_jEEvDpT3_,"axG",@progbits,_Z6kernelI13subtract_leftLj256ELj3ELb0EJPaS1_jEEvDpT3_,comdat
.Lfunc_end13:
	.size	_Z6kernelI13subtract_leftLj256ELj3ELb0EJPaS1_jEEvDpT3_, .Lfunc_end13-_Z6kernelI13subtract_leftLj256ELj3ELb0EJPaS1_jEEvDpT3_
                                        ; -- End function
	.section	.AMDGPU.csdata,"",@progbits
; Kernel info:
; codeLenInByte = 476
; NumSgprs: 18
; NumVgprs: 8
; ScratchSize: 0
; MemoryBound: 0
; FloatMode: 240
; IeeeMode: 1
; LDSByteSize: 512 bytes/workgroup (compile time only)
; SGPRBlocks: 2
; VGPRBlocks: 0
; NumSGPRsForWavesPerEU: 18
; NumVGPRsForWavesPerEU: 8
; Occupancy: 16
; WaveLimiterHint : 1
; COMPUTE_PGM_RSRC2:SCRATCH_EN: 0
; COMPUTE_PGM_RSRC2:USER_SGPR: 15
; COMPUTE_PGM_RSRC2:TRAP_HANDLER: 0
; COMPUTE_PGM_RSRC2:TGID_X_EN: 1
; COMPUTE_PGM_RSRC2:TGID_Y_EN: 0
; COMPUTE_PGM_RSRC2:TGID_Z_EN: 0
; COMPUTE_PGM_RSRC2:TIDIG_COMP_CNT: 0
	.section	.text._Z6kernelI13subtract_leftLj256ELj4ELb0EJPaS1_jEEvDpT3_,"axG",@progbits,_Z6kernelI13subtract_leftLj256ELj4ELb0EJPaS1_jEEvDpT3_,comdat
	.protected	_Z6kernelI13subtract_leftLj256ELj4ELb0EJPaS1_jEEvDpT3_ ; -- Begin function _Z6kernelI13subtract_leftLj256ELj4ELb0EJPaS1_jEEvDpT3_
	.globl	_Z6kernelI13subtract_leftLj256ELj4ELb0EJPaS1_jEEvDpT3_
	.p2align	8
	.type	_Z6kernelI13subtract_leftLj256ELj4ELb0EJPaS1_jEEvDpT3_,@function
_Z6kernelI13subtract_leftLj256ELj4ELb0EJPaS1_jEEvDpT3_: ; @_Z6kernelI13subtract_leftLj256ELj4ELb0EJPaS1_jEEvDpT3_
; %bb.0:
	s_load_b128 s[4:7], s[0:1], 0x0
	s_lshl_b32 s2, s15, 10
	s_load_b32 s0, s[0:1], 0x10
	s_waitcnt lgkmcnt(0)
	s_add_u32 s4, s4, s2
	s_addc_u32 s5, s5, 0
	s_cmp_eq_u32 s0, 0
	s_clause 0x3
	global_load_u8 v1, v0, s[4:5] offset:256
	global_load_u8 v2, v0, s[4:5] offset:768
	global_load_u8 v3, v0, s[4:5]
	global_load_u8 v4, v0, s[4:5] offset:512
	s_waitcnt vmcnt(3)
	v_lshlrev_b16 v1, 8, v1
	s_waitcnt vmcnt(2)
	v_lshlrev_b16 v2, 8, v2
	s_waitcnt vmcnt(1)
	s_delay_alu instid0(VALU_DEP_2) | instskip(SKIP_1) | instid1(VALU_DEP_2)
	v_or_b32_e32 v1, v3, v1
	s_waitcnt vmcnt(0)
	v_or_b32_e32 v2, v4, v2
	s_delay_alu instid0(VALU_DEP_2) | instskip(NEXT) | instid1(VALU_DEP_2)
	v_and_b32_e32 v1, 0xffff, v1
	v_lshlrev_b32_e32 v2, 16, v2
	s_delay_alu instid0(VALU_DEP_1)
	v_or_b32_e32 v1, v1, v2
	s_cbranch_scc1 .LBB14_5
; %bb.1:
	v_cmp_ne_u32_e32 vcc_lo, 0, v0
	v_add_nc_u32_e32 v2, -1, v0
	s_branch .LBB14_3
.LBB14_2:                               ;   in Loop: Header=BB14_3 Depth=1
	s_or_b32 exec_lo, exec_lo, s1
	s_delay_alu instid0(VALU_DEP_1)
	v_lshrrev_b32_e32 v7, 8, v6
	v_lshrrev_b32_e32 v8, 24, v6
	v_lshrrev_b32_e32 v9, 16, v6
	v_add_nc_u16 v1, v6, v1
	s_add_i32 s0, s0, -1
	v_add_nc_u16 v4, v7, v4
	v_add_nc_u16 v5, v8, v5
	;; [unrolled: 1-line block ×3, first 2 shown]
	v_and_b32_e32 v1, 0xff, v1
	s_cmp_lg_u32 s0, 0
	v_lshlrev_b16 v4, 8, v4
	v_lshlrev_b16 v5, 8, v5
	v_and_b32_e32 v3, 0xff, v3
	s_barrier
	s_delay_alu instid0(VALU_DEP_3) | instskip(SKIP_3) | instid1(VALU_DEP_2)
	v_or_b32_e32 v1, v1, v4
	buffer_gl0_inv
	v_or_b32_e32 v3, v3, v5
	v_and_b32_e32 v1, 0xffff, v1
	v_lshlrev_b32_e32 v3, 16, v3
	s_delay_alu instid0(VALU_DEP_1)
	v_or_b32_e32 v1, v1, v3
	s_cbranch_scc0 .LBB14_5
.LBB14_3:                               ; =>This Inner Loop Header: Depth=1
	s_delay_alu instid0(VALU_DEP_1) | instskip(SKIP_3) | instid1(VALU_DEP_4)
	v_lshrrev_b32_e32 v4, 8, v1
	v_lshrrev_b32_e32 v3, 16, v1
	;; [unrolled: 1-line block ×3, first 2 shown]
	v_and_b32_e32 v9, 0xff, v1
	v_sub_nc_u16 v6, v4, v1
	s_delay_alu instid0(VALU_DEP_4) | instskip(NEXT) | instid1(VALU_DEP_4)
	v_sub_nc_u16 v7, v3, v4
	v_sub_nc_u16 v8, v5, v3
	ds_store_b8 v0, v5
	s_waitcnt lgkmcnt(0)
	v_lshlrev_b16 v6, 8, v6
	v_and_b32_e32 v7, 0xff, v7
	v_lshlrev_b16 v8, 8, v8
	s_barrier
	buffer_gl0_inv
	v_or_b32_e32 v6, v9, v6
	v_or_b32_e32 v7, v7, v8
	s_delay_alu instid0(VALU_DEP_2) | instskip(NEXT) | instid1(VALU_DEP_2)
	v_and_b32_e32 v6, 0xffff, v6
	v_lshlrev_b32_e32 v7, 16, v7
	s_delay_alu instid0(VALU_DEP_1)
	v_or_b32_e32 v6, v6, v7
	s_and_saveexec_b32 s1, vcc_lo
	s_cbranch_execz .LBB14_2
; %bb.4:                                ;   in Loop: Header=BB14_3 Depth=1
	ds_load_u8 v7, v2
	s_waitcnt lgkmcnt(0)
	v_sub_nc_u16 v7, v1, v7
	s_delay_alu instid0(VALU_DEP_1)
	v_perm_b32 v6, v7, v6, 0x3020104
	s_branch .LBB14_2
.LBB14_5:
	s_add_u32 s0, s6, s2
	s_addc_u32 s1, s7, 0
	v_add_co_u32 v2, s0, s0, v0
	s_delay_alu instid0(VALU_DEP_1)
	v_add_co_ci_u32_e64 v3, null, s1, 0, s0
	v_lshrrev_b32_e32 v0, 8, v1
	v_lshrrev_b32_e32 v4, 24, v1
	s_clause 0x3
	global_store_b8 v[2:3], v1, off
	global_store_b8 v[2:3], v0, off offset:256
	global_store_d16_hi_b8 v[2:3], v1, off offset:512
	global_store_b8 v[2:3], v4, off offset:768
	s_nop 0
	s_sendmsg sendmsg(MSG_DEALLOC_VGPRS)
	s_endpgm
	.section	.rodata,"a",@progbits
	.p2align	6, 0x0
	.amdhsa_kernel _Z6kernelI13subtract_leftLj256ELj4ELb0EJPaS1_jEEvDpT3_
		.amdhsa_group_segment_fixed_size 512
		.amdhsa_private_segment_fixed_size 0
		.amdhsa_kernarg_size 20
		.amdhsa_user_sgpr_count 15
		.amdhsa_user_sgpr_dispatch_ptr 0
		.amdhsa_user_sgpr_queue_ptr 0
		.amdhsa_user_sgpr_kernarg_segment_ptr 1
		.amdhsa_user_sgpr_dispatch_id 0
		.amdhsa_user_sgpr_private_segment_size 0
		.amdhsa_wavefront_size32 1
		.amdhsa_uses_dynamic_stack 0
		.amdhsa_enable_private_segment 0
		.amdhsa_system_sgpr_workgroup_id_x 1
		.amdhsa_system_sgpr_workgroup_id_y 0
		.amdhsa_system_sgpr_workgroup_id_z 0
		.amdhsa_system_sgpr_workgroup_info 0
		.amdhsa_system_vgpr_workitem_id 0
		.amdhsa_next_free_vgpr 10
		.amdhsa_next_free_sgpr 16
		.amdhsa_reserve_vcc 1
		.amdhsa_float_round_mode_32 0
		.amdhsa_float_round_mode_16_64 0
		.amdhsa_float_denorm_mode_32 3
		.amdhsa_float_denorm_mode_16_64 3
		.amdhsa_dx10_clamp 1
		.amdhsa_ieee_mode 1
		.amdhsa_fp16_overflow 0
		.amdhsa_workgroup_processor_mode 1
		.amdhsa_memory_ordered 1
		.amdhsa_forward_progress 0
		.amdhsa_shared_vgpr_count 0
		.amdhsa_exception_fp_ieee_invalid_op 0
		.amdhsa_exception_fp_denorm_src 0
		.amdhsa_exception_fp_ieee_div_zero 0
		.amdhsa_exception_fp_ieee_overflow 0
		.amdhsa_exception_fp_ieee_underflow 0
		.amdhsa_exception_fp_ieee_inexact 0
		.amdhsa_exception_int_div_zero 0
	.end_amdhsa_kernel
	.section	.text._Z6kernelI13subtract_leftLj256ELj4ELb0EJPaS1_jEEvDpT3_,"axG",@progbits,_Z6kernelI13subtract_leftLj256ELj4ELb0EJPaS1_jEEvDpT3_,comdat
.Lfunc_end14:
	.size	_Z6kernelI13subtract_leftLj256ELj4ELb0EJPaS1_jEEvDpT3_, .Lfunc_end14-_Z6kernelI13subtract_leftLj256ELj4ELb0EJPaS1_jEEvDpT3_
                                        ; -- End function
	.section	.AMDGPU.csdata,"",@progbits
; Kernel info:
; codeLenInByte = 560
; NumSgprs: 18
; NumVgprs: 10
; ScratchSize: 0
; MemoryBound: 0
; FloatMode: 240
; IeeeMode: 1
; LDSByteSize: 512 bytes/workgroup (compile time only)
; SGPRBlocks: 2
; VGPRBlocks: 1
; NumSGPRsForWavesPerEU: 18
; NumVGPRsForWavesPerEU: 10
; Occupancy: 16
; WaveLimiterHint : 1
; COMPUTE_PGM_RSRC2:SCRATCH_EN: 0
; COMPUTE_PGM_RSRC2:USER_SGPR: 15
; COMPUTE_PGM_RSRC2:TRAP_HANDLER: 0
; COMPUTE_PGM_RSRC2:TGID_X_EN: 1
; COMPUTE_PGM_RSRC2:TGID_Y_EN: 0
; COMPUTE_PGM_RSRC2:TGID_Z_EN: 0
; COMPUTE_PGM_RSRC2:TIDIG_COMP_CNT: 0
	.section	.text._Z6kernelI13subtract_leftLj256ELj8ELb0EJPaS1_jEEvDpT3_,"axG",@progbits,_Z6kernelI13subtract_leftLj256ELj8ELb0EJPaS1_jEEvDpT3_,comdat
	.protected	_Z6kernelI13subtract_leftLj256ELj8ELb0EJPaS1_jEEvDpT3_ ; -- Begin function _Z6kernelI13subtract_leftLj256ELj8ELb0EJPaS1_jEEvDpT3_
	.globl	_Z6kernelI13subtract_leftLj256ELj8ELb0EJPaS1_jEEvDpT3_
	.p2align	8
	.type	_Z6kernelI13subtract_leftLj256ELj8ELb0EJPaS1_jEEvDpT3_,@function
_Z6kernelI13subtract_leftLj256ELj8ELb0EJPaS1_jEEvDpT3_: ; @_Z6kernelI13subtract_leftLj256ELj8ELb0EJPaS1_jEEvDpT3_
; %bb.0:
	s_load_b128 s[4:7], s[0:1], 0x0
	s_lshl_b32 s2, s15, 11
	s_load_b32 s0, s[0:1], 0x10
	s_waitcnt lgkmcnt(0)
	s_add_u32 s4, s4, s2
	s_addc_u32 s5, s5, 0
	s_cmp_eq_u32 s0, 0
	s_clause 0x7
	global_load_u8 v1, v0, s[4:5] offset:256
	global_load_u8 v2, v0, s[4:5] offset:768
	;; [unrolled: 1-line block ×4, first 2 shown]
	global_load_u8 v5, v0, s[4:5]
	global_load_u8 v6, v0, s[4:5] offset:512
	global_load_u8 v7, v0, s[4:5] offset:1024
	;; [unrolled: 1-line block ×3, first 2 shown]
	s_waitcnt vmcnt(7)
	v_lshlrev_b16 v1, 8, v1
	s_waitcnt vmcnt(6)
	v_lshlrev_b16 v2, 8, v2
	;; [unrolled: 2-line block ×4, first 2 shown]
	s_waitcnt vmcnt(3)
	v_or_b32_e32 v1, v5, v1
	s_waitcnt vmcnt(2)
	v_or_b32_e32 v2, v6, v2
	;; [unrolled: 2-line block ×4, first 2 shown]
	v_and_b32_e32 v1, 0xffff, v1
	v_lshlrev_b32_e32 v2, 16, v2
	v_and_b32_e32 v3, 0xffff, v3
	s_delay_alu instid0(VALU_DEP_4) | instskip(NEXT) | instid1(VALU_DEP_3)
	v_lshlrev_b32_e32 v4, 16, v4
	v_or_b32_e32 v1, v1, v2
	s_delay_alu instid0(VALU_DEP_2)
	v_or_b32_e32 v2, v3, v4
	s_cbranch_scc1 .LBB15_5
; %bb.1:
	v_cmp_ne_u32_e32 vcc_lo, 0, v0
	v_add_nc_u32_e32 v5, -1, v0
	s_branch .LBB15_3
.LBB15_2:                               ;   in Loop: Header=BB15_3 Depth=1
	s_or_b32 exec_lo, exec_lo, s1
	s_delay_alu instid0(VALU_DEP_1)
	v_lshrrev_b32_e32 v12, 8, v11
	v_lshrrev_b32_e32 v13, 16, v11
	v_add_nc_u16 v1, v11, v1
	v_lshrrev_b32_e32 v11, 24, v11
	v_lshrrev_b32_e32 v14, 24, v10
	v_add_nc_u16 v9, v12, v9
	v_add_nc_u16 v4, v13, v4
	v_lshrrev_b32_e32 v12, 8, v10
	v_lshrrev_b32_e32 v13, 16, v10
	v_add_nc_u16 v3, v11, v3
	v_add_nc_u16 v2, v10, v2
	;; [unrolled: 1-line block ×5, first 2 shown]
	v_and_b32_e32 v1, 0xff, v1
	v_lshlrev_b16 v9, 8, v9
	v_lshlrev_b16 v3, 8, v3
	v_and_b32_e32 v4, 0xff, v4
	v_and_b32_e32 v2, 0xff, v2
	v_lshlrev_b16 v6, 8, v6
	v_lshlrev_b16 v8, 8, v8
	v_and_b32_e32 v7, 0xff, v7
	v_or_b32_e32 v1, v1, v9
	v_or_b32_e32 v3, v4, v3
	;; [unrolled: 1-line block ×3, first 2 shown]
	s_add_i32 s0, s0, -1
	v_or_b32_e32 v4, v7, v8
	v_and_b32_e32 v1, 0xffff, v1
	v_lshlrev_b32_e32 v3, 16, v3
	v_and_b32_e32 v2, 0xffff, v2
	s_cmp_lg_u32 s0, 0
	v_lshlrev_b32_e32 v4, 16, v4
	s_delay_alu instid0(VALU_DEP_3)
	v_or_b32_e32 v1, v1, v3
	s_barrier
	buffer_gl0_inv
	v_or_b32_e32 v2, v2, v4
	s_cbranch_scc0 .LBB15_5
.LBB15_3:                               ; =>This Inner Loop Header: Depth=1
	s_delay_alu instid0(VALU_DEP_1)
	v_lshrrev_b64 v[3:4], 24, v[1:2]
	v_lshrrev_b32_e32 v6, 8, v2
	v_lshrrev_b32_e32 v7, 16, v2
	;; [unrolled: 1-line block ×5, first 2 shown]
	v_sub_nc_u16 v16, v2, v3
	v_sub_nc_u16 v12, v7, v6
	;; [unrolled: 1-line block ×7, first 2 shown]
	v_and_b32_e32 v10, 0xff, v1
	v_lshlrev_b16 v13, 8, v13
	v_and_b32_e32 v14, 0xff, v14
	v_lshlrev_b16 v15, 8, v15
	;; [unrolled: 2-line block ×4, first 2 shown]
	v_or_b32_e32 v10, v10, v13
	v_or_b32_e32 v13, v14, v15
	;; [unrolled: 1-line block ×3, first 2 shown]
	ds_store_b8 v0, v8
	v_or_b32_e32 v11, v12, v11
	v_and_b32_e32 v10, 0xffff, v10
	v_lshlrev_b32_e32 v12, 16, v13
	v_and_b32_e32 v13, 0xffff, v14
	s_waitcnt lgkmcnt(0)
	v_lshlrev_b32_e32 v14, 16, v11
	s_barrier
	v_or_b32_e32 v11, v10, v12
	buffer_gl0_inv
	v_or_b32_e32 v10, v13, v14
	s_and_saveexec_b32 s1, vcc_lo
	s_cbranch_execz .LBB15_2
; %bb.4:                                ;   in Loop: Header=BB15_3 Depth=1
	ds_load_u8 v12, v5
	s_waitcnt lgkmcnt(0)
	v_sub_nc_u16 v12, v1, v12
	s_delay_alu instid0(VALU_DEP_1)
	v_perm_b32 v11, v12, v11, 0x3020104
	s_branch .LBB15_2
.LBB15_5:
	s_add_u32 s0, s6, s2
	s_addc_u32 s1, s7, 0
	v_add_co_u32 v3, s0, s0, v0
	s_delay_alu instid0(VALU_DEP_1)
	v_add_co_ci_u32_e64 v4, null, s1, 0, s0
	v_lshrrev_b32_e32 v0, 8, v1
	v_lshrrev_b32_e32 v5, 24, v1
	;; [unrolled: 1-line block ×4, first 2 shown]
	s_clause 0x7
	global_store_b8 v[3:4], v1, off
	global_store_b8 v[3:4], v0, off offset:256
	global_store_d16_hi_b8 v[3:4], v1, off offset:512
	global_store_b8 v[3:4], v5, off offset:768
	global_store_b8 v[3:4], v2, off offset:1024
	;; [unrolled: 1-line block ×3, first 2 shown]
	global_store_d16_hi_b8 v[3:4], v2, off offset:1536
	global_store_b8 v[3:4], v7, off offset:1792
	s_nop 0
	s_sendmsg sendmsg(MSG_DEALLOC_VGPRS)
	s_endpgm
	.section	.rodata,"a",@progbits
	.p2align	6, 0x0
	.amdhsa_kernel _Z6kernelI13subtract_leftLj256ELj8ELb0EJPaS1_jEEvDpT3_
		.amdhsa_group_segment_fixed_size 512
		.amdhsa_private_segment_fixed_size 0
		.amdhsa_kernarg_size 20
		.amdhsa_user_sgpr_count 15
		.amdhsa_user_sgpr_dispatch_ptr 0
		.amdhsa_user_sgpr_queue_ptr 0
		.amdhsa_user_sgpr_kernarg_segment_ptr 1
		.amdhsa_user_sgpr_dispatch_id 0
		.amdhsa_user_sgpr_private_segment_size 0
		.amdhsa_wavefront_size32 1
		.amdhsa_uses_dynamic_stack 0
		.amdhsa_enable_private_segment 0
		.amdhsa_system_sgpr_workgroup_id_x 1
		.amdhsa_system_sgpr_workgroup_id_y 0
		.amdhsa_system_sgpr_workgroup_id_z 0
		.amdhsa_system_sgpr_workgroup_info 0
		.amdhsa_system_vgpr_workitem_id 0
		.amdhsa_next_free_vgpr 18
		.amdhsa_next_free_sgpr 16
		.amdhsa_reserve_vcc 1
		.amdhsa_float_round_mode_32 0
		.amdhsa_float_round_mode_16_64 0
		.amdhsa_float_denorm_mode_32 3
		.amdhsa_float_denorm_mode_16_64 3
		.amdhsa_dx10_clamp 1
		.amdhsa_ieee_mode 1
		.amdhsa_fp16_overflow 0
		.amdhsa_workgroup_processor_mode 1
		.amdhsa_memory_ordered 1
		.amdhsa_forward_progress 0
		.amdhsa_shared_vgpr_count 0
		.amdhsa_exception_fp_ieee_invalid_op 0
		.amdhsa_exception_fp_denorm_src 0
		.amdhsa_exception_fp_ieee_div_zero 0
		.amdhsa_exception_fp_ieee_overflow 0
		.amdhsa_exception_fp_ieee_underflow 0
		.amdhsa_exception_fp_ieee_inexact 0
		.amdhsa_exception_int_div_zero 0
	.end_amdhsa_kernel
	.section	.text._Z6kernelI13subtract_leftLj256ELj8ELb0EJPaS1_jEEvDpT3_,"axG",@progbits,_Z6kernelI13subtract_leftLj256ELj8ELb0EJPaS1_jEEvDpT3_,comdat
.Lfunc_end15:
	.size	_Z6kernelI13subtract_leftLj256ELj8ELb0EJPaS1_jEEvDpT3_, .Lfunc_end15-_Z6kernelI13subtract_leftLj256ELj8ELb0EJPaS1_jEEvDpT3_
                                        ; -- End function
	.section	.AMDGPU.csdata,"",@progbits
; Kernel info:
; codeLenInByte = 872
; NumSgprs: 18
; NumVgprs: 18
; ScratchSize: 0
; MemoryBound: 0
; FloatMode: 240
; IeeeMode: 1
; LDSByteSize: 512 bytes/workgroup (compile time only)
; SGPRBlocks: 2
; VGPRBlocks: 2
; NumSGPRsForWavesPerEU: 18
; NumVGPRsForWavesPerEU: 18
; Occupancy: 16
; WaveLimiterHint : 1
; COMPUTE_PGM_RSRC2:SCRATCH_EN: 0
; COMPUTE_PGM_RSRC2:USER_SGPR: 15
; COMPUTE_PGM_RSRC2:TRAP_HANDLER: 0
; COMPUTE_PGM_RSRC2:TGID_X_EN: 1
; COMPUTE_PGM_RSRC2:TGID_Y_EN: 0
; COMPUTE_PGM_RSRC2:TGID_Z_EN: 0
; COMPUTE_PGM_RSRC2:TIDIG_COMP_CNT: 0
	.section	.text._Z6kernelI13subtract_leftLj256ELj16ELb0EJPaS1_jEEvDpT3_,"axG",@progbits,_Z6kernelI13subtract_leftLj256ELj16ELb0EJPaS1_jEEvDpT3_,comdat
	.protected	_Z6kernelI13subtract_leftLj256ELj16ELb0EJPaS1_jEEvDpT3_ ; -- Begin function _Z6kernelI13subtract_leftLj256ELj16ELb0EJPaS1_jEEvDpT3_
	.globl	_Z6kernelI13subtract_leftLj256ELj16ELb0EJPaS1_jEEvDpT3_
	.p2align	8
	.type	_Z6kernelI13subtract_leftLj256ELj16ELb0EJPaS1_jEEvDpT3_,@function
_Z6kernelI13subtract_leftLj256ELj16ELb0EJPaS1_jEEvDpT3_: ; @_Z6kernelI13subtract_leftLj256ELj16ELb0EJPaS1_jEEvDpT3_
; %bb.0:
	s_load_b128 s[4:7], s[0:1], 0x0
	s_lshl_b32 s2, s15, 12
	s_load_b32 s0, s[0:1], 0x10
	s_waitcnt lgkmcnt(0)
	s_add_u32 s4, s4, s2
	s_addc_u32 s5, s5, 0
	s_cmp_eq_u32 s0, 0
	s_clause 0xf
	global_load_u8 v1, v0, s[4:5] offset:256
	global_load_u8 v2, v0, s[4:5] offset:768
	;; [unrolled: 1-line block ×8, first 2 shown]
	global_load_u8 v9, v0, s[4:5]
	global_load_u8 v10, v0, s[4:5] offset:512
	global_load_u8 v11, v0, s[4:5] offset:1024
	;; [unrolled: 1-line block ×7, first 2 shown]
	s_waitcnt vmcnt(15)
	v_lshlrev_b16 v1, 8, v1
	s_waitcnt vmcnt(14)
	v_lshlrev_b16 v2, 8, v2
	;; [unrolled: 2-line block ×8, first 2 shown]
	s_waitcnt vmcnt(7)
	v_or_b32_e32 v1, v9, v1
	s_waitcnt vmcnt(6)
	v_or_b32_e32 v2, v10, v2
	;; [unrolled: 2-line block ×8, first 2 shown]
	v_and_b32_e32 v1, 0xffff, v1
	v_lshlrev_b32_e32 v2, 16, v2
	v_and_b32_e32 v9, 0xffff, v3
	v_lshlrev_b32_e32 v4, 16, v4
	;; [unrolled: 2-line block ×4, first 2 shown]
	v_or_b32_e32 v3, v1, v2
	v_or_b32_e32 v4, v9, v4
	v_or_b32_e32 v1, v5, v6
	s_delay_alu instid0(VALU_DEP_4)
	v_or_b32_e32 v2, v7, v8
	s_cbranch_scc1 .LBB16_5
; %bb.1:
	v_cmp_ne_u32_e32 vcc_lo, 0, v0
	v_add_nc_u32_e32 v8, -1, v0
	s_branch .LBB16_3
.LBB16_2:                               ;   in Loop: Header=BB16_3 Depth=1
	s_or_b32 exec_lo, exec_lo, s1
	s_delay_alu instid0(VALU_DEP_1)
	v_lshrrev_b32_e32 v22, 16, v21
	v_lshrrev_b32_e32 v24, 8, v21
	;; [unrolled: 1-line block ×3, first 2 shown]
	v_add_nc_u16 v3, v21, v3
	v_lshrrev_b32_e32 v21, 8, v20
	v_lshrrev_b32_e32 v23, 16, v20
	;; [unrolled: 1-line block ×4, first 2 shown]
	v_add_nc_u16 v16, v22, v16
	v_add_nc_u16 v4, v20, v4
	v_lshrrev_b32_e32 v20, 24, v20
	v_add_nc_u16 v14, v21, v14
	v_lshrrev_b32_e32 v21, 8, v19
	v_lshrrev_b32_e32 v22, 24, v19
	v_add_nc_u16 v1, v19, v1
	v_add_nc_u16 v2, v18, v2
	v_lshrrev_b32_e32 v19, 8, v18
	v_lshrrev_b32_e32 v18, 24, v18
	v_add_nc_u16 v17, v24, v17
	v_add_nc_u16 v6, v27, v6
	;; [unrolled: 1-line block ×7, first 2 shown]
	v_and_b32_e32 v4, 0xff, v4
	v_lshlrev_b16 v14, 8, v14
	v_add_nc_u16 v11, v19, v11
	v_add_nc_u16 v9, v26, v9
	;; [unrolled: 1-line block ×3, first 2 shown]
	v_and_b32_e32 v3, 0xff, v3
	v_lshlrev_b16 v17, 8, v17
	v_lshlrev_b16 v6, 8, v6
	v_and_b32_e32 v16, 0xff, v16
	v_or_b32_e32 v4, v4, v14
	v_lshlrev_b16 v7, 8, v7
	v_and_b32_e32 v12, 0xff, v12
	v_and_b32_e32 v1, 0xff, v1
	v_lshlrev_b16 v14, 8, v15
	v_lshlrev_b16 v5, 8, v5
	v_and_b32_e32 v13, 0xff, v13
	v_and_b32_e32 v2, 0xff, v2
	v_lshlrev_b16 v11, 8, v11
	v_lshlrev_b16 v10, 8, v10
	v_and_b32_e32 v9, 0xff, v9
	v_or_b32_e32 v3, v3, v17
	v_or_b32_e32 v6, v16, v6
	;; [unrolled: 1-line block ×7, first 2 shown]
	v_and_b32_e32 v3, 0xffff, v3
	v_lshlrev_b32_e32 v6, 16, v6
	v_and_b32_e32 v4, 0xffff, v4
	v_lshlrev_b32_e32 v7, 16, v7
	;; [unrolled: 2-line block ×4, first 2 shown]
	v_or_b32_e32 v3, v3, v6
	v_or_b32_e32 v4, v4, v7
	;; [unrolled: 1-line block ×3, first 2 shown]
	s_add_i32 s0, s0, -1
	v_or_b32_e32 v2, v2, v9
	s_cmp_lg_u32 s0, 0
	s_barrier
	buffer_gl0_inv
	s_cbranch_scc0 .LBB16_5
.LBB16_3:                               ; =>This Inner Loop Header: Depth=1
	v_lshrrev_b64 v[5:6], 24, v[1:2]
	v_lshrrev_b64 v[6:7], 24, v[3:4]
	v_lshrrev_b32_e32 v14, 8, v4
	v_lshrrev_b32_e32 v12, 16, v4
	;; [unrolled: 1-line block ×6, first 2 shown]
	v_sub_nc_u16 v28, v12, v14
	v_sub_nc_u16 v25, v6, v16
	;; [unrolled: 1-line block ×5, first 2 shown]
	v_lshrrev_b32_e32 v10, 24, v2
	v_lshrrev_b32_e32 v11, 8, v2
	;; [unrolled: 1-line block ×4, first 2 shown]
	v_and_b32_e32 v24, 0xff, v24
	v_lshlrev_b16 v25, 8, v25
	v_and_b32_e32 v29, 0xff, v3
	v_lshlrev_b16 v27, 8, v27
	v_lshlrev_b16 v26, 8, v26
	v_and_b32_e32 v28, 0xff, v28
	v_sub_nc_u16 v18, v10, v9
	v_sub_nc_u16 v19, v9, v11
	;; [unrolled: 1-line block ×8, first 2 shown]
	v_or_b32_e32 v24, v24, v25
	v_or_b32_e32 v25, v29, v27
	;; [unrolled: 1-line block ×3, first 2 shown]
	v_sub_nc_u16 v27, v14, v4
	v_sub_nc_u16 v28, v4, v6
	v_and_b32_e32 v23, 0xff, v23
	v_lshlrev_b16 v22, 8, v22
	v_lshlrev_b16 v29, 8, v30
	;; [unrolled: 1-line block ×3, first 2 shown]
	v_and_b32_e32 v28, 0xff, v28
	v_and_b32_e32 v30, 0xff, v31
	v_lshlrev_b16 v18, 8, v18
	v_and_b32_e32 v19, 0xff, v19
	v_lshlrev_b16 v20, 8, v20
	v_and_b32_e32 v21, 0xff, v21
	v_or_b32_e32 v27, v28, v27
	v_or_b32_e32 v22, v23, v22
	v_or_b32_e32 v23, v30, v29
	v_or_b32_e32 v18, v19, v18
	v_or_b32_e32 v19, v21, v20
	v_lshlrev_b32_e32 v24, 16, v24
	v_and_b32_e32 v25, 0xffff, v25
	v_lshlrev_b32_e32 v26, 16, v26
	v_and_b32_e32 v20, 0xffff, v27
	;; [unrolled: 2-line block ×4, first 2 shown]
	v_or_b32_e32 v21, v25, v24
	v_or_b32_e32 v20, v20, v26
	;; [unrolled: 1-line block ×3, first 2 shown]
	ds_store_b8 v0, v10
	v_or_b32_e32 v18, v27, v18
	s_waitcnt lgkmcnt(0)
	s_barrier
	buffer_gl0_inv
	s_and_saveexec_b32 s1, vcc_lo
	s_cbranch_execz .LBB16_2
; %bb.4:                                ;   in Loop: Header=BB16_3 Depth=1
	ds_load_u8 v22, v8
	s_waitcnt lgkmcnt(0)
	v_sub_nc_u16 v22, v3, v22
	s_delay_alu instid0(VALU_DEP_1)
	v_perm_b32 v21, v22, v21, 0x3020104
	s_branch .LBB16_2
.LBB16_5:
	s_add_u32 s0, s6, s2
	s_addc_u32 s1, s7, 0
	v_add_co_u32 v5, s0, s0, v0
	s_delay_alu instid0(VALU_DEP_1)
	v_add_co_ci_u32_e64 v6, null, s1, 0, s0
	v_lshrrev_b32_e32 v0, 8, v3
	v_lshrrev_b32_e32 v7, 24, v3
	;; [unrolled: 1-line block ×4, first 2 shown]
	s_clause 0x7
	global_store_b8 v[5:6], v3, off
	global_store_b8 v[5:6], v0, off offset:256
	global_store_d16_hi_b8 v[5:6], v3, off offset:512
	global_store_b8 v[5:6], v7, off offset:768
	global_store_b8 v[5:6], v4, off offset:1024
	global_store_b8 v[5:6], v8, off offset:1280
	global_store_d16_hi_b8 v[5:6], v4, off offset:1536
	global_store_b8 v[5:6], v9, off offset:1792
	v_lshrrev_b32_e32 v0, 8, v1
	v_lshrrev_b32_e32 v3, 24, v1
	;; [unrolled: 1-line block ×4, first 2 shown]
	s_clause 0x7
	global_store_b8 v[5:6], v1, off offset:2048
	global_store_b8 v[5:6], v0, off offset:2304
	global_store_d16_hi_b8 v[5:6], v1, off offset:2560
	global_store_b8 v[5:6], v3, off offset:2816
	global_store_b8 v[5:6], v2, off offset:3072
	;; [unrolled: 1-line block ×3, first 2 shown]
	global_store_d16_hi_b8 v[5:6], v2, off offset:3584
	global_store_b8 v[5:6], v7, off offset:3840
	s_nop 0
	s_sendmsg sendmsg(MSG_DEALLOC_VGPRS)
	s_endpgm
	.section	.rodata,"a",@progbits
	.p2align	6, 0x0
	.amdhsa_kernel _Z6kernelI13subtract_leftLj256ELj16ELb0EJPaS1_jEEvDpT3_
		.amdhsa_group_segment_fixed_size 512
		.amdhsa_private_segment_fixed_size 0
		.amdhsa_kernarg_size 20
		.amdhsa_user_sgpr_count 15
		.amdhsa_user_sgpr_dispatch_ptr 0
		.amdhsa_user_sgpr_queue_ptr 0
		.amdhsa_user_sgpr_kernarg_segment_ptr 1
		.amdhsa_user_sgpr_dispatch_id 0
		.amdhsa_user_sgpr_private_segment_size 0
		.amdhsa_wavefront_size32 1
		.amdhsa_uses_dynamic_stack 0
		.amdhsa_enable_private_segment 0
		.amdhsa_system_sgpr_workgroup_id_x 1
		.amdhsa_system_sgpr_workgroup_id_y 0
		.amdhsa_system_sgpr_workgroup_id_z 0
		.amdhsa_system_sgpr_workgroup_info 0
		.amdhsa_system_vgpr_workitem_id 0
		.amdhsa_next_free_vgpr 32
		.amdhsa_next_free_sgpr 16
		.amdhsa_reserve_vcc 1
		.amdhsa_float_round_mode_32 0
		.amdhsa_float_round_mode_16_64 0
		.amdhsa_float_denorm_mode_32 3
		.amdhsa_float_denorm_mode_16_64 3
		.amdhsa_dx10_clamp 1
		.amdhsa_ieee_mode 1
		.amdhsa_fp16_overflow 0
		.amdhsa_workgroup_processor_mode 1
		.amdhsa_memory_ordered 1
		.amdhsa_forward_progress 0
		.amdhsa_shared_vgpr_count 0
		.amdhsa_exception_fp_ieee_invalid_op 0
		.amdhsa_exception_fp_denorm_src 0
		.amdhsa_exception_fp_ieee_div_zero 0
		.amdhsa_exception_fp_ieee_overflow 0
		.amdhsa_exception_fp_ieee_underflow 0
		.amdhsa_exception_fp_ieee_inexact 0
		.amdhsa_exception_int_div_zero 0
	.end_amdhsa_kernel
	.section	.text._Z6kernelI13subtract_leftLj256ELj16ELb0EJPaS1_jEEvDpT3_,"axG",@progbits,_Z6kernelI13subtract_leftLj256ELj16ELb0EJPaS1_jEEvDpT3_,comdat
.Lfunc_end16:
	.size	_Z6kernelI13subtract_leftLj256ELj16ELb0EJPaS1_jEEvDpT3_, .Lfunc_end16-_Z6kernelI13subtract_leftLj256ELj16ELb0EJPaS1_jEEvDpT3_
                                        ; -- End function
	.section	.AMDGPU.csdata,"",@progbits
; Kernel info:
; codeLenInByte = 1524
; NumSgprs: 18
; NumVgprs: 32
; ScratchSize: 0
; MemoryBound: 0
; FloatMode: 240
; IeeeMode: 1
; LDSByteSize: 512 bytes/workgroup (compile time only)
; SGPRBlocks: 2
; VGPRBlocks: 3
; NumSGPRsForWavesPerEU: 18
; NumVGPRsForWavesPerEU: 32
; Occupancy: 16
; WaveLimiterHint : 1
; COMPUTE_PGM_RSRC2:SCRATCH_EN: 0
; COMPUTE_PGM_RSRC2:USER_SGPR: 15
; COMPUTE_PGM_RSRC2:TRAP_HANDLER: 0
; COMPUTE_PGM_RSRC2:TGID_X_EN: 1
; COMPUTE_PGM_RSRC2:TGID_Y_EN: 0
; COMPUTE_PGM_RSRC2:TGID_Z_EN: 0
; COMPUTE_PGM_RSRC2:TIDIG_COMP_CNT: 0
	.section	.text._Z6kernelI13subtract_leftLj256ELj32ELb0EJPaS1_jEEvDpT3_,"axG",@progbits,_Z6kernelI13subtract_leftLj256ELj32ELb0EJPaS1_jEEvDpT3_,comdat
	.protected	_Z6kernelI13subtract_leftLj256ELj32ELb0EJPaS1_jEEvDpT3_ ; -- Begin function _Z6kernelI13subtract_leftLj256ELj32ELb0EJPaS1_jEEvDpT3_
	.globl	_Z6kernelI13subtract_leftLj256ELj32ELb0EJPaS1_jEEvDpT3_
	.p2align	8
	.type	_Z6kernelI13subtract_leftLj256ELj32ELb0EJPaS1_jEEvDpT3_,@function
_Z6kernelI13subtract_leftLj256ELj32ELb0EJPaS1_jEEvDpT3_: ; @_Z6kernelI13subtract_leftLj256ELj32ELb0EJPaS1_jEEvDpT3_
; %bb.0:
	s_load_b128 s[4:7], s[0:1], 0x0
	s_lshl_b32 s2, s15, 13
	s_load_b32 s0, s[0:1], 0x10
	s_waitcnt lgkmcnt(0)
	s_add_u32 s4, s4, s2
	s_addc_u32 s5, s5, 0
	v_add_co_u32 v1, s1, s4, v0
	s_delay_alu instid0(VALU_DEP_1)
	v_add_co_ci_u32_e64 v2, null, s5, 0, s1
	s_clause 0x7
	global_load_u8 v32, v0, s[4:5]
	global_load_u8 v31, v0, s[4:5] offset:256
	global_load_u8 v30, v0, s[4:5] offset:512
	;; [unrolled: 1-line block ×7, first 2 shown]
	v_add_co_u32 v33, vcc_lo, 0x1000, v1
	v_add_co_ci_u32_e32 v34, vcc_lo, 0, v2, vcc_lo
	s_clause 0x17
	global_load_u8 v24, v0, s[4:5] offset:2048
	global_load_u8 v23, v0, s[4:5] offset:2304
	;; [unrolled: 1-line block ×8, first 2 shown]
	global_load_u8 v16, v[33:34], off
	global_load_u8 v15, v[33:34], off offset:256
	global_load_u8 v14, v[33:34], off offset:512
	;; [unrolled: 1-line block ×15, first 2 shown]
	s_cmp_eq_u32 s0, 0
	s_cbranch_scc1 .LBB17_5
; %bb.1:
	v_cmp_ne_u32_e32 vcc_lo, 0, v0
	v_add_nc_u32_e32 v33, -1, v0
	s_branch .LBB17_3
.LBB17_2:                               ;   in Loop: Header=BB17_3 Depth=1
	s_or_b32 exec_lo, exec_lo, s1
	v_sub_nc_u16 v35, v1, v2
	v_sub_nc_u16 v36, v2, v3
	;; [unrolled: 1-line block ×31, first 2 shown]
	v_add_nc_u16 v32, v34, v32
	v_add_nc_u16 v31, v62, v31
	;; [unrolled: 1-line block ×32, first 2 shown]
	s_add_i32 s0, s0, -1
	s_delay_alu instid0(SALU_CYCLE_1)
	s_cmp_lg_u32 s0, 0
	s_barrier
	buffer_gl0_inv
	s_cbranch_scc0 .LBB17_5
.LBB17_3:                               ; =>This Inner Loop Header: Depth=1
	s_waitcnt vmcnt(31)
	v_mov_b32_e32 v34, v32
	s_waitcnt vmcnt(0)
	ds_store_b8 v0, v1
	s_waitcnt lgkmcnt(0)
	s_barrier
	buffer_gl0_inv
	s_and_saveexec_b32 s1, vcc_lo
	s_cbranch_execz .LBB17_2
; %bb.4:                                ;   in Loop: Header=BB17_3 Depth=1
	ds_load_u8 v34, v33
	s_waitcnt lgkmcnt(0)
	v_sub_nc_u16 v34, v32, v34
	s_branch .LBB17_2
.LBB17_5:
	s_add_u32 s0, s6, s2
	s_addc_u32 s1, s7, 0
	v_add_co_u32 v33, s0, s0, v0
	s_delay_alu instid0(VALU_DEP_1)
	v_add_co_ci_u32_e64 v34, null, s1, 0, s0
	s_waitcnt vmcnt(31)
	global_store_b8 v[33:34], v32, off
	s_waitcnt vmcnt(30)
	global_store_b8 v[33:34], v31, off offset:256
	s_waitcnt vmcnt(29)
	global_store_b8 v[33:34], v30, off offset:512
	;; [unrolled: 2-line block ×7, first 2 shown]
	v_add_co_u32 v25, vcc_lo, 0x1000, v33
	v_add_co_ci_u32_e32 v26, vcc_lo, 0, v34, vcc_lo
	s_waitcnt vmcnt(23)
	global_store_b8 v[33:34], v24, off offset:2048
	s_waitcnt vmcnt(22)
	global_store_b8 v[33:34], v23, off offset:2304
	;; [unrolled: 2-line block ×8, first 2 shown]
	s_waitcnt vmcnt(15)
	global_store_b8 v[25:26], v16, off
	s_waitcnt vmcnt(14)
	global_store_b8 v[25:26], v15, off offset:256
	s_waitcnt vmcnt(13)
	global_store_b8 v[25:26], v14, off offset:512
	;; [unrolled: 2-line block ×15, first 2 shown]
	s_nop 0
	s_sendmsg sendmsg(MSG_DEALLOC_VGPRS)
	s_endpgm
	.section	.rodata,"a",@progbits
	.p2align	6, 0x0
	.amdhsa_kernel _Z6kernelI13subtract_leftLj256ELj32ELb0EJPaS1_jEEvDpT3_
		.amdhsa_group_segment_fixed_size 512
		.amdhsa_private_segment_fixed_size 0
		.amdhsa_kernarg_size 20
		.amdhsa_user_sgpr_count 15
		.amdhsa_user_sgpr_dispatch_ptr 0
		.amdhsa_user_sgpr_queue_ptr 0
		.amdhsa_user_sgpr_kernarg_segment_ptr 1
		.amdhsa_user_sgpr_dispatch_id 0
		.amdhsa_user_sgpr_private_segment_size 0
		.amdhsa_wavefront_size32 1
		.amdhsa_uses_dynamic_stack 0
		.amdhsa_enable_private_segment 0
		.amdhsa_system_sgpr_workgroup_id_x 1
		.amdhsa_system_sgpr_workgroup_id_y 0
		.amdhsa_system_sgpr_workgroup_id_z 0
		.amdhsa_system_sgpr_workgroup_info 0
		.amdhsa_system_vgpr_workitem_id 0
		.amdhsa_next_free_vgpr 66
		.amdhsa_next_free_sgpr 16
		.amdhsa_reserve_vcc 1
		.amdhsa_float_round_mode_32 0
		.amdhsa_float_round_mode_16_64 0
		.amdhsa_float_denorm_mode_32 3
		.amdhsa_float_denorm_mode_16_64 3
		.amdhsa_dx10_clamp 1
		.amdhsa_ieee_mode 1
		.amdhsa_fp16_overflow 0
		.amdhsa_workgroup_processor_mode 1
		.amdhsa_memory_ordered 1
		.amdhsa_forward_progress 0
		.amdhsa_shared_vgpr_count 0
		.amdhsa_exception_fp_ieee_invalid_op 0
		.amdhsa_exception_fp_denorm_src 0
		.amdhsa_exception_fp_ieee_div_zero 0
		.amdhsa_exception_fp_ieee_overflow 0
		.amdhsa_exception_fp_ieee_underflow 0
		.amdhsa_exception_fp_ieee_inexact 0
		.amdhsa_exception_int_div_zero 0
	.end_amdhsa_kernel
	.section	.text._Z6kernelI13subtract_leftLj256ELj32ELb0EJPaS1_jEEvDpT3_,"axG",@progbits,_Z6kernelI13subtract_leftLj256ELj32ELb0EJPaS1_jEEvDpT3_,comdat
.Lfunc_end17:
	.size	_Z6kernelI13subtract_leftLj256ELj32ELb0EJPaS1_jEEvDpT3_, .Lfunc_end17-_Z6kernelI13subtract_leftLj256ELj32ELb0EJPaS1_jEEvDpT3_
                                        ; -- End function
	.section	.AMDGPU.csdata,"",@progbits
; Kernel info:
; codeLenInByte = 1396
; NumSgprs: 18
; NumVgprs: 66
; ScratchSize: 0
; MemoryBound: 0
; FloatMode: 240
; IeeeMode: 1
; LDSByteSize: 512 bytes/workgroup (compile time only)
; SGPRBlocks: 2
; VGPRBlocks: 8
; NumSGPRsForWavesPerEU: 18
; NumVGPRsForWavesPerEU: 66
; Occupancy: 16
; WaveLimiterHint : 1
; COMPUTE_PGM_RSRC2:SCRATCH_EN: 0
; COMPUTE_PGM_RSRC2:USER_SGPR: 15
; COMPUTE_PGM_RSRC2:TRAP_HANDLER: 0
; COMPUTE_PGM_RSRC2:TGID_X_EN: 1
; COMPUTE_PGM_RSRC2:TGID_Y_EN: 0
; COMPUTE_PGM_RSRC2:TGID_Z_EN: 0
; COMPUTE_PGM_RSRC2:TIDIG_COMP_CNT: 0
	.section	.text._Z6kernelI13subtract_leftLj256ELj1ELb0EJPxS1_jEEvDpT3_,"axG",@progbits,_Z6kernelI13subtract_leftLj256ELj1ELb0EJPxS1_jEEvDpT3_,comdat
	.protected	_Z6kernelI13subtract_leftLj256ELj1ELb0EJPxS1_jEEvDpT3_ ; -- Begin function _Z6kernelI13subtract_leftLj256ELj1ELb0EJPxS1_jEEvDpT3_
	.globl	_Z6kernelI13subtract_leftLj256ELj1ELb0EJPxS1_jEEvDpT3_
	.p2align	8
	.type	_Z6kernelI13subtract_leftLj256ELj1ELb0EJPxS1_jEEvDpT3_,@function
_Z6kernelI13subtract_leftLj256ELj1ELb0EJPxS1_jEEvDpT3_: ; @_Z6kernelI13subtract_leftLj256ELj1ELb0EJPxS1_jEEvDpT3_
; %bb.0:
	s_load_b128 s[4:7], s[0:1], 0x0
	s_lshl_b32 s2, s15, 8
	s_mov_b32 s3, 0
	v_lshlrev_b32_e32 v5, 3, v0
	s_lshl_b64 s[2:3], s[2:3], 3
	s_load_b32 s1, s[0:1], 0x10
	s_waitcnt lgkmcnt(0)
	s_add_u32 s4, s4, s2
	s_addc_u32 s5, s5, s3
	global_load_b64 v[1:2], v5, s[4:5]
	s_cmp_eq_u32 s1, 0
	s_cbranch_scc1 .LBB18_5
; %bb.1:
	v_cmp_ne_u32_e32 vcc_lo, 0, v0
	v_add_nc_u32_e32 v0, -8, v5
	s_branch .LBB18_3
	.p2align	6
.LBB18_2:                               ;   in Loop: Header=BB18_3 Depth=1
	s_or_b32 exec_lo, exec_lo, s4
	s_delay_alu instid0(VALU_DEP_2) | instskip(NEXT) | instid1(VALU_DEP_1)
	v_add_co_u32 v1, s0, v3, v1
	v_add_co_ci_u32_e64 v2, s0, v4, v2, s0
	s_add_i32 s1, s1, -1
	s_delay_alu instid0(SALU_CYCLE_1)
	s_cmp_lg_u32 s1, 0
	s_barrier
	buffer_gl0_inv
	s_cbranch_scc0 .LBB18_5
.LBB18_3:                               ; =>This Inner Loop Header: Depth=1
	s_waitcnt vmcnt(0)
	v_dual_mov_b32 v4, v2 :: v_dual_mov_b32 v3, v1
	ds_store_b64 v5, v[1:2]
	s_waitcnt lgkmcnt(0)
	s_barrier
	buffer_gl0_inv
	s_and_saveexec_b32 s4, vcc_lo
	s_cbranch_execz .LBB18_2
; %bb.4:                                ;   in Loop: Header=BB18_3 Depth=1
	ds_load_b64 v[3:4], v0
	s_waitcnt lgkmcnt(0)
	v_sub_co_u32 v3, s0, v1, v3
	s_delay_alu instid0(VALU_DEP_1)
	v_sub_co_ci_u32_e64 v4, s0, v2, v4, s0
	s_branch .LBB18_2
.LBB18_5:
	s_add_u32 s0, s6, s2
	s_addc_u32 s1, s7, s3
	s_waitcnt vmcnt(0)
	global_store_b64 v5, v[1:2], s[0:1]
	s_nop 0
	s_sendmsg sendmsg(MSG_DEALLOC_VGPRS)
	s_endpgm
	.section	.rodata,"a",@progbits
	.p2align	6, 0x0
	.amdhsa_kernel _Z6kernelI13subtract_leftLj256ELj1ELb0EJPxS1_jEEvDpT3_
		.amdhsa_group_segment_fixed_size 4096
		.amdhsa_private_segment_fixed_size 0
		.amdhsa_kernarg_size 20
		.amdhsa_user_sgpr_count 15
		.amdhsa_user_sgpr_dispatch_ptr 0
		.amdhsa_user_sgpr_queue_ptr 0
		.amdhsa_user_sgpr_kernarg_segment_ptr 1
		.amdhsa_user_sgpr_dispatch_id 0
		.amdhsa_user_sgpr_private_segment_size 0
		.amdhsa_wavefront_size32 1
		.amdhsa_uses_dynamic_stack 0
		.amdhsa_enable_private_segment 0
		.amdhsa_system_sgpr_workgroup_id_x 1
		.amdhsa_system_sgpr_workgroup_id_y 0
		.amdhsa_system_sgpr_workgroup_id_z 0
		.amdhsa_system_sgpr_workgroup_info 0
		.amdhsa_system_vgpr_workitem_id 0
		.amdhsa_next_free_vgpr 6
		.amdhsa_next_free_sgpr 16
		.amdhsa_reserve_vcc 1
		.amdhsa_float_round_mode_32 0
		.amdhsa_float_round_mode_16_64 0
		.amdhsa_float_denorm_mode_32 3
		.amdhsa_float_denorm_mode_16_64 3
		.amdhsa_dx10_clamp 1
		.amdhsa_ieee_mode 1
		.amdhsa_fp16_overflow 0
		.amdhsa_workgroup_processor_mode 1
		.amdhsa_memory_ordered 1
		.amdhsa_forward_progress 0
		.amdhsa_shared_vgpr_count 0
		.amdhsa_exception_fp_ieee_invalid_op 0
		.amdhsa_exception_fp_denorm_src 0
		.amdhsa_exception_fp_ieee_div_zero 0
		.amdhsa_exception_fp_ieee_overflow 0
		.amdhsa_exception_fp_ieee_underflow 0
		.amdhsa_exception_fp_ieee_inexact 0
		.amdhsa_exception_int_div_zero 0
	.end_amdhsa_kernel
	.section	.text._Z6kernelI13subtract_leftLj256ELj1ELb0EJPxS1_jEEvDpT3_,"axG",@progbits,_Z6kernelI13subtract_leftLj256ELj1ELb0EJPxS1_jEEvDpT3_,comdat
.Lfunc_end18:
	.size	_Z6kernelI13subtract_leftLj256ELj1ELb0EJPxS1_jEEvDpT3_, .Lfunc_end18-_Z6kernelI13subtract_leftLj256ELj1ELb0EJPxS1_jEEvDpT3_
                                        ; -- End function
	.section	.AMDGPU.csdata,"",@progbits
; Kernel info:
; codeLenInByte = 236
; NumSgprs: 18
; NumVgprs: 6
; ScratchSize: 0
; MemoryBound: 0
; FloatMode: 240
; IeeeMode: 1
; LDSByteSize: 4096 bytes/workgroup (compile time only)
; SGPRBlocks: 2
; VGPRBlocks: 0
; NumSGPRsForWavesPerEU: 18
; NumVGPRsForWavesPerEU: 6
; Occupancy: 16
; WaveLimiterHint : 0
; COMPUTE_PGM_RSRC2:SCRATCH_EN: 0
; COMPUTE_PGM_RSRC2:USER_SGPR: 15
; COMPUTE_PGM_RSRC2:TRAP_HANDLER: 0
; COMPUTE_PGM_RSRC2:TGID_X_EN: 1
; COMPUTE_PGM_RSRC2:TGID_Y_EN: 0
; COMPUTE_PGM_RSRC2:TGID_Z_EN: 0
; COMPUTE_PGM_RSRC2:TIDIG_COMP_CNT: 0
	.section	.text._Z6kernelI13subtract_leftLj256ELj3ELb0EJPxS1_jEEvDpT3_,"axG",@progbits,_Z6kernelI13subtract_leftLj256ELj3ELb0EJPxS1_jEEvDpT3_,comdat
	.protected	_Z6kernelI13subtract_leftLj256ELj3ELb0EJPxS1_jEEvDpT3_ ; -- Begin function _Z6kernelI13subtract_leftLj256ELj3ELb0EJPxS1_jEEvDpT3_
	.globl	_Z6kernelI13subtract_leftLj256ELj3ELb0EJPxS1_jEEvDpT3_
	.p2align	8
	.type	_Z6kernelI13subtract_leftLj256ELj3ELb0EJPxS1_jEEvDpT3_,@function
_Z6kernelI13subtract_leftLj256ELj3ELb0EJPxS1_jEEvDpT3_: ; @_Z6kernelI13subtract_leftLj256ELj3ELb0EJPxS1_jEEvDpT3_
; %bb.0:
	s_load_b128 s[4:7], s[0:1], 0x0
	s_mov_b32 s3, 0
	s_mul_i32 s2, s15, 0x300
	v_lshlrev_b32_e32 v11, 3, v0
	s_lshl_b64 s[2:3], s[2:3], 3
	s_load_b32 s1, s[0:1], 0x10
	s_waitcnt lgkmcnt(0)
	s_add_u32 s4, s4, s2
	s_addc_u32 s5, s5, s3
	v_add_co_u32 v1, s0, s4, v11
	s_delay_alu instid0(VALU_DEP_1) | instskip(SKIP_1) | instid1(VALU_DEP_2)
	v_add_co_ci_u32_e64 v2, null, s5, 0, s0
	s_cmp_eq_u32 s1, 0
	v_add_co_u32 v1, vcc_lo, 0x1000, v1
	s_delay_alu instid0(VALU_DEP_2)
	v_add_co_ci_u32_e32 v2, vcc_lo, 0, v2, vcc_lo
	s_clause 0x2
	global_load_b64 v[3:4], v11, s[4:5]
	global_load_b64 v[5:6], v11, s[4:5] offset:2048
	global_load_b64 v[1:2], v[1:2], off
	s_cbranch_scc1 .LBB19_6
; %bb.1:
	v_cmp_ne_u32_e32 vcc_lo, 0, v0
	v_add_nc_u32_e32 v0, -8, v11
	s_set_inst_prefetch_distance 0x1
	.p2align	6
.LBB19_2:                               ; =>This Inner Loop Header: Depth=1
	s_waitcnt vmcnt(2)
	s_delay_alu instid0(VALU_DEP_2)
	v_dual_mov_b32 v8, v4 :: v_dual_mov_b32 v7, v3
	s_waitcnt vmcnt(0)
	ds_store_b64 v11, v[1:2]
	s_waitcnt lgkmcnt(0)
	s_barrier
	buffer_gl0_inv
	s_and_saveexec_b32 s4, vcc_lo
	s_cbranch_execz .LBB19_4
; %bb.3:                                ;   in Loop: Header=BB19_2 Depth=1
	ds_load_b64 v[7:8], v0
	s_waitcnt lgkmcnt(0)
	v_sub_co_u32 v7, s0, v3, v7
	s_delay_alu instid0(VALU_DEP_1)
	v_sub_co_ci_u32_e64 v8, s0, v4, v8, s0
.LBB19_4:                               ;   in Loop: Header=BB19_2 Depth=1
	s_or_b32 exec_lo, exec_lo, s4
	v_lshlrev_b64 v[9:10], 1, v[5:6]
	s_delay_alu instid0(VALU_DEP_3) | instskip(SKIP_2) | instid1(VALU_DEP_4)
	v_add_co_u32 v7, s0, v7, v3
	v_lshlrev_b64 v[1:2], 1, v[1:2]
	v_add_co_ci_u32_e64 v8, s0, v8, v4, s0
	v_sub_co_u32 v9, s0, v9, v3
	s_delay_alu instid0(VALU_DEP_1) | instskip(NEXT) | instid1(VALU_DEP_4)
	v_sub_co_ci_u32_e64 v10, s0, v10, v4, s0
	v_sub_co_u32 v1, s0, v1, v5
	s_delay_alu instid0(VALU_DEP_1) | instskip(SKIP_1) | instid1(SALU_CYCLE_1)
	v_sub_co_ci_u32_e64 v2, s0, v2, v6, s0
	s_add_i32 s1, s1, -1
	s_cmp_lg_u32 s1, 0
	s_barrier
	buffer_gl0_inv
	s_cbranch_scc0 .LBB19_7
; %bb.5:                                ;   in Loop: Header=BB19_2 Depth=1
	v_dual_mov_b32 v3, v7 :: v_dual_mov_b32 v4, v8
	v_dual_mov_b32 v5, v9 :: v_dual_mov_b32 v6, v10
	s_branch .LBB19_2
.LBB19_6:
	s_waitcnt vmcnt(1)
	v_dual_mov_b32 v10, v6 :: v_dual_mov_b32 v9, v5
	v_dual_mov_b32 v8, v4 :: v_dual_mov_b32 v7, v3
.LBB19_7:
	s_set_inst_prefetch_distance 0x2
	s_add_u32 s0, s6, s2
	s_addc_u32 s1, s7, s3
	v_add_co_u32 v0, s2, s0, v11
	s_delay_alu instid0(VALU_DEP_1) | instskip(NEXT) | instid1(VALU_DEP_2)
	v_add_co_ci_u32_e64 v4, null, s1, 0, s2
	v_add_co_u32 v3, vcc_lo, 0x1000, v0
	s_delay_alu instid0(VALU_DEP_2)
	v_add_co_ci_u32_e32 v4, vcc_lo, 0, v4, vcc_lo
	s_clause 0x1
	global_store_b64 v11, v[7:8], s[0:1]
	global_store_b64 v11, v[9:10], s[0:1] offset:2048
	s_waitcnt vmcnt(0)
	global_store_b64 v[3:4], v[1:2], off
	s_nop 0
	s_sendmsg sendmsg(MSG_DEALLOC_VGPRS)
	s_endpgm
	.section	.rodata,"a",@progbits
	.p2align	6, 0x0
	.amdhsa_kernel _Z6kernelI13subtract_leftLj256ELj3ELb0EJPxS1_jEEvDpT3_
		.amdhsa_group_segment_fixed_size 4096
		.amdhsa_private_segment_fixed_size 0
		.amdhsa_kernarg_size 20
		.amdhsa_user_sgpr_count 15
		.amdhsa_user_sgpr_dispatch_ptr 0
		.amdhsa_user_sgpr_queue_ptr 0
		.amdhsa_user_sgpr_kernarg_segment_ptr 1
		.amdhsa_user_sgpr_dispatch_id 0
		.amdhsa_user_sgpr_private_segment_size 0
		.amdhsa_wavefront_size32 1
		.amdhsa_uses_dynamic_stack 0
		.amdhsa_enable_private_segment 0
		.amdhsa_system_sgpr_workgroup_id_x 1
		.amdhsa_system_sgpr_workgroup_id_y 0
		.amdhsa_system_sgpr_workgroup_id_z 0
		.amdhsa_system_sgpr_workgroup_info 0
		.amdhsa_system_vgpr_workitem_id 0
		.amdhsa_next_free_vgpr 12
		.amdhsa_next_free_sgpr 16
		.amdhsa_reserve_vcc 1
		.amdhsa_float_round_mode_32 0
		.amdhsa_float_round_mode_16_64 0
		.amdhsa_float_denorm_mode_32 3
		.amdhsa_float_denorm_mode_16_64 3
		.amdhsa_dx10_clamp 1
		.amdhsa_ieee_mode 1
		.amdhsa_fp16_overflow 0
		.amdhsa_workgroup_processor_mode 1
		.amdhsa_memory_ordered 1
		.amdhsa_forward_progress 0
		.amdhsa_shared_vgpr_count 0
		.amdhsa_exception_fp_ieee_invalid_op 0
		.amdhsa_exception_fp_denorm_src 0
		.amdhsa_exception_fp_ieee_div_zero 0
		.amdhsa_exception_fp_ieee_overflow 0
		.amdhsa_exception_fp_ieee_underflow 0
		.amdhsa_exception_fp_ieee_inexact 0
		.amdhsa_exception_int_div_zero 0
	.end_amdhsa_kernel
	.section	.text._Z6kernelI13subtract_leftLj256ELj3ELb0EJPxS1_jEEvDpT3_,"axG",@progbits,_Z6kernelI13subtract_leftLj256ELj3ELb0EJPxS1_jEEvDpT3_,comdat
.Lfunc_end19:
	.size	_Z6kernelI13subtract_leftLj256ELj3ELb0EJPxS1_jEEvDpT3_, .Lfunc_end19-_Z6kernelI13subtract_leftLj256ELj3ELb0EJPxS1_jEEvDpT3_
                                        ; -- End function
	.section	.AMDGPU.csdata,"",@progbits
; Kernel info:
; codeLenInByte = 460
; NumSgprs: 18
; NumVgprs: 12
; ScratchSize: 0
; MemoryBound: 0
; FloatMode: 240
; IeeeMode: 1
; LDSByteSize: 4096 bytes/workgroup (compile time only)
; SGPRBlocks: 2
; VGPRBlocks: 1
; NumSGPRsForWavesPerEU: 18
; NumVGPRsForWavesPerEU: 12
; Occupancy: 16
; WaveLimiterHint : 1
; COMPUTE_PGM_RSRC2:SCRATCH_EN: 0
; COMPUTE_PGM_RSRC2:USER_SGPR: 15
; COMPUTE_PGM_RSRC2:TRAP_HANDLER: 0
; COMPUTE_PGM_RSRC2:TGID_X_EN: 1
; COMPUTE_PGM_RSRC2:TGID_Y_EN: 0
; COMPUTE_PGM_RSRC2:TGID_Z_EN: 0
; COMPUTE_PGM_RSRC2:TIDIG_COMP_CNT: 0
	.section	.text._Z6kernelI13subtract_leftLj256ELj4ELb0EJPxS1_jEEvDpT3_,"axG",@progbits,_Z6kernelI13subtract_leftLj256ELj4ELb0EJPxS1_jEEvDpT3_,comdat
	.protected	_Z6kernelI13subtract_leftLj256ELj4ELb0EJPxS1_jEEvDpT3_ ; -- Begin function _Z6kernelI13subtract_leftLj256ELj4ELb0EJPxS1_jEEvDpT3_
	.globl	_Z6kernelI13subtract_leftLj256ELj4ELb0EJPxS1_jEEvDpT3_
	.p2align	8
	.type	_Z6kernelI13subtract_leftLj256ELj4ELb0EJPxS1_jEEvDpT3_,@function
_Z6kernelI13subtract_leftLj256ELj4ELb0EJPxS1_jEEvDpT3_: ; @_Z6kernelI13subtract_leftLj256ELj4ELb0EJPxS1_jEEvDpT3_
; %bb.0:
	s_load_b128 s[4:7], s[0:1], 0x0
	s_mov_b32 s3, 0
	s_lshl_b32 s2, s15, 10
	v_lshlrev_b32_e32 v15, 3, v0
	s_lshl_b64 s[2:3], s[2:3], 3
	s_load_b32 s1, s[0:1], 0x10
	s_waitcnt lgkmcnt(0)
	s_add_u32 s4, s4, s2
	s_addc_u32 s5, s5, s3
	v_add_co_u32 v1, s0, s4, v15
	s_delay_alu instid0(VALU_DEP_1) | instskip(SKIP_1) | instid1(VALU_DEP_2)
	v_add_co_ci_u32_e64 v2, null, s5, 0, s0
	s_cmp_eq_u32 s1, 0
	v_add_co_u32 v1, vcc_lo, 0x1000, v1
	s_delay_alu instid0(VALU_DEP_2)
	v_add_co_ci_u32_e32 v2, vcc_lo, 0, v2, vcc_lo
	s_clause 0x3
	global_load_b64 v[7:8], v15, s[4:5]
	global_load_b64 v[3:4], v15, s[4:5] offset:2048
	global_load_b64 v[5:6], v[1:2], off
	global_load_b64 v[1:2], v[1:2], off offset:2048
	s_cbranch_scc1 .LBB20_6
; %bb.1:
	v_cmp_ne_u32_e32 vcc_lo, 0, v0
	v_add_nc_u32_e32 v0, -8, v15
	s_set_inst_prefetch_distance 0x1
	.p2align	6
.LBB20_2:                               ; =>This Inner Loop Header: Depth=1
	s_waitcnt vmcnt(3)
	v_dual_mov_b32 v10, v8 :: v_dual_mov_b32 v9, v7
	s_waitcnt vmcnt(0)
	ds_store_b64 v15, v[1:2]
	s_waitcnt lgkmcnt(0)
	s_barrier
	buffer_gl0_inv
	s_and_saveexec_b32 s4, vcc_lo
	s_cbranch_execz .LBB20_4
; %bb.3:                                ;   in Loop: Header=BB20_2 Depth=1
	ds_load_b64 v[9:10], v0
	s_waitcnt lgkmcnt(0)
	v_sub_co_u32 v9, s0, v7, v9
	s_delay_alu instid0(VALU_DEP_1)
	v_sub_co_ci_u32_e64 v10, s0, v8, v10, s0
.LBB20_4:                               ;   in Loop: Header=BB20_2 Depth=1
	s_or_b32 exec_lo, exec_lo, s4
	v_lshlrev_b64 v[11:12], 1, v[3:4]
	s_delay_alu instid0(VALU_DEP_3) | instskip(SKIP_2) | instid1(VALU_DEP_4)
	v_add_co_u32 v9, s0, v9, v7
	v_lshlrev_b64 v[13:14], 1, v[5:6]
	v_add_co_ci_u32_e64 v10, s0, v10, v8, s0
	v_sub_co_u32 v11, s0, v11, v7
	v_lshlrev_b64 v[1:2], 1, v[1:2]
	v_sub_co_ci_u32_e64 v12, s0, v12, v8, s0
	v_sub_co_u32 v13, s0, v13, v3
	s_delay_alu instid0(VALU_DEP_1) | instskip(NEXT) | instid1(VALU_DEP_4)
	v_sub_co_ci_u32_e64 v14, s0, v14, v4, s0
	v_sub_co_u32 v1, s0, v1, v5
	s_delay_alu instid0(VALU_DEP_1) | instskip(SKIP_1) | instid1(SALU_CYCLE_1)
	v_sub_co_ci_u32_e64 v2, s0, v2, v6, s0
	s_add_i32 s1, s1, -1
	s_cmp_lg_u32 s1, 0
	s_barrier
	buffer_gl0_inv
	s_cbranch_scc0 .LBB20_7
; %bb.5:                                ;   in Loop: Header=BB20_2 Depth=1
	v_dual_mov_b32 v7, v9 :: v_dual_mov_b32 v8, v10
	v_dual_mov_b32 v3, v11 :: v_dual_mov_b32 v4, v12
	;; [unrolled: 1-line block ×3, first 2 shown]
	s_branch .LBB20_2
.LBB20_6:
	s_waitcnt vmcnt(1)
	v_dual_mov_b32 v14, v6 :: v_dual_mov_b32 v13, v5
	v_dual_mov_b32 v12, v4 :: v_dual_mov_b32 v11, v3
	;; [unrolled: 1-line block ×3, first 2 shown]
.LBB20_7:
	s_set_inst_prefetch_distance 0x2
	s_add_u32 s0, s6, s2
	s_addc_u32 s1, s7, s3
	v_add_co_u32 v0, s2, s0, v15
	s_delay_alu instid0(VALU_DEP_1) | instskip(NEXT) | instid1(VALU_DEP_2)
	v_add_co_ci_u32_e64 v4, null, s1, 0, s2
	v_add_co_u32 v3, vcc_lo, 0x1000, v0
	s_delay_alu instid0(VALU_DEP_2)
	v_add_co_ci_u32_e32 v4, vcc_lo, 0, v4, vcc_lo
	s_clause 0x2
	global_store_b64 v15, v[9:10], s[0:1]
	global_store_b64 v15, v[11:12], s[0:1] offset:2048
	global_store_b64 v[3:4], v[13:14], off
	s_waitcnt vmcnt(0)
	global_store_b64 v[3:4], v[1:2], off offset:2048
	s_nop 0
	s_sendmsg sendmsg(MSG_DEALLOC_VGPRS)
	s_endpgm
	.section	.rodata,"a",@progbits
	.p2align	6, 0x0
	.amdhsa_kernel _Z6kernelI13subtract_leftLj256ELj4ELb0EJPxS1_jEEvDpT3_
		.amdhsa_group_segment_fixed_size 4096
		.amdhsa_private_segment_fixed_size 0
		.amdhsa_kernarg_size 20
		.amdhsa_user_sgpr_count 15
		.amdhsa_user_sgpr_dispatch_ptr 0
		.amdhsa_user_sgpr_queue_ptr 0
		.amdhsa_user_sgpr_kernarg_segment_ptr 1
		.amdhsa_user_sgpr_dispatch_id 0
		.amdhsa_user_sgpr_private_segment_size 0
		.amdhsa_wavefront_size32 1
		.amdhsa_uses_dynamic_stack 0
		.amdhsa_enable_private_segment 0
		.amdhsa_system_sgpr_workgroup_id_x 1
		.amdhsa_system_sgpr_workgroup_id_y 0
		.amdhsa_system_sgpr_workgroup_id_z 0
		.amdhsa_system_sgpr_workgroup_info 0
		.amdhsa_system_vgpr_workitem_id 0
		.amdhsa_next_free_vgpr 16
		.amdhsa_next_free_sgpr 16
		.amdhsa_reserve_vcc 1
		.amdhsa_float_round_mode_32 0
		.amdhsa_float_round_mode_16_64 0
		.amdhsa_float_denorm_mode_32 3
		.amdhsa_float_denorm_mode_16_64 3
		.amdhsa_dx10_clamp 1
		.amdhsa_ieee_mode 1
		.amdhsa_fp16_overflow 0
		.amdhsa_workgroup_processor_mode 1
		.amdhsa_memory_ordered 1
		.amdhsa_forward_progress 0
		.amdhsa_shared_vgpr_count 0
		.amdhsa_exception_fp_ieee_invalid_op 0
		.amdhsa_exception_fp_denorm_src 0
		.amdhsa_exception_fp_ieee_div_zero 0
		.amdhsa_exception_fp_ieee_overflow 0
		.amdhsa_exception_fp_ieee_underflow 0
		.amdhsa_exception_fp_ieee_inexact 0
		.amdhsa_exception_int_div_zero 0
	.end_amdhsa_kernel
	.section	.text._Z6kernelI13subtract_leftLj256ELj4ELb0EJPxS1_jEEvDpT3_,"axG",@progbits,_Z6kernelI13subtract_leftLj256ELj4ELb0EJPxS1_jEEvDpT3_,comdat
.Lfunc_end20:
	.size	_Z6kernelI13subtract_leftLj256ELj4ELb0EJPxS1_jEEvDpT3_, .Lfunc_end20-_Z6kernelI13subtract_leftLj256ELj4ELb0EJPxS1_jEEvDpT3_
                                        ; -- End function
	.section	.AMDGPU.csdata,"",@progbits
; Kernel info:
; codeLenInByte = 508
; NumSgprs: 18
; NumVgprs: 16
; ScratchSize: 0
; MemoryBound: 0
; FloatMode: 240
; IeeeMode: 1
; LDSByteSize: 4096 bytes/workgroup (compile time only)
; SGPRBlocks: 2
; VGPRBlocks: 1
; NumSGPRsForWavesPerEU: 18
; NumVGPRsForWavesPerEU: 16
; Occupancy: 16
; WaveLimiterHint : 1
; COMPUTE_PGM_RSRC2:SCRATCH_EN: 0
; COMPUTE_PGM_RSRC2:USER_SGPR: 15
; COMPUTE_PGM_RSRC2:TRAP_HANDLER: 0
; COMPUTE_PGM_RSRC2:TGID_X_EN: 1
; COMPUTE_PGM_RSRC2:TGID_Y_EN: 0
; COMPUTE_PGM_RSRC2:TGID_Z_EN: 0
; COMPUTE_PGM_RSRC2:TIDIG_COMP_CNT: 0
	.section	.text._Z6kernelI13subtract_leftLj256ELj8ELb0EJPxS1_jEEvDpT3_,"axG",@progbits,_Z6kernelI13subtract_leftLj256ELj8ELb0EJPxS1_jEEvDpT3_,comdat
	.protected	_Z6kernelI13subtract_leftLj256ELj8ELb0EJPxS1_jEEvDpT3_ ; -- Begin function _Z6kernelI13subtract_leftLj256ELj8ELb0EJPxS1_jEEvDpT3_
	.globl	_Z6kernelI13subtract_leftLj256ELj8ELb0EJPxS1_jEEvDpT3_
	.p2align	8
	.type	_Z6kernelI13subtract_leftLj256ELj8ELb0EJPxS1_jEEvDpT3_,@function
_Z6kernelI13subtract_leftLj256ELj8ELb0EJPxS1_jEEvDpT3_: ; @_Z6kernelI13subtract_leftLj256ELj8ELb0EJPxS1_jEEvDpT3_
; %bb.0:
	s_load_b128 s[4:7], s[0:1], 0x0
	s_mov_b32 s3, 0
	s_lshl_b32 s2, s15, 11
	v_lshlrev_b32_e32 v19, 3, v0
	s_lshl_b64 s[2:3], s[2:3], 3
	s_load_b32 s1, s[0:1], 0x10
	s_waitcnt lgkmcnt(0)
	s_add_u32 s4, s4, s2
	s_addc_u32 s5, s5, s3
	v_add_co_u32 v1, s0, s4, v19
	s_delay_alu instid0(VALU_DEP_1) | instskip(SKIP_1) | instid1(VALU_DEP_2)
	v_add_co_ci_u32_e64 v2, null, s5, 0, s0
	s_cmp_eq_u32 s1, 0
	v_add_co_u32 v5, vcc_lo, 0x1000, v1
	s_delay_alu instid0(VALU_DEP_2)
	v_add_co_ci_u32_e32 v6, vcc_lo, 0, v2, vcc_lo
	v_add_co_u32 v13, vcc_lo, v1, 0x2000
	v_add_co_ci_u32_e32 v14, vcc_lo, 0, v2, vcc_lo
	v_add_co_u32 v9, vcc_lo, 0x2000, v1
	;; [unrolled: 2-line block ×3, first 2 shown]
	v_add_co_ci_u32_e32 v18, vcc_lo, 0, v2, vcc_lo
	s_clause 0x7
	global_load_b64 v[15:16], v[13:14], off
	global_load_b64 v[1:2], v19, s[4:5]
	global_load_b64 v[3:4], v19, s[4:5] offset:2048
	global_load_b64 v[7:8], v[5:6], off offset:2048
	global_load_b64 v[9:10], v[9:10], off offset:2048
	global_load_b64 v[11:12], v[17:18], off
	global_load_b64 v[5:6], v[13:14], off offset:-4096
	global_load_b64 v[13:14], v[17:18], off offset:2048
	s_cbranch_scc1 .LBB21_5
; %bb.1:
	v_cmp_ne_u32_e32 vcc_lo, 0, v0
	v_add_nc_u32_e32 v0, -8, v19
	s_branch .LBB21_3
.LBB21_2:                               ;   in Loop: Header=BB21_3 Depth=1
	s_or_b32 exec_lo, exec_lo, s4
	v_sub_co_u32 v20, s0, v13, v11
	s_delay_alu instid0(VALU_DEP_1) | instskip(SKIP_1) | instid1(VALU_DEP_1)
	v_sub_co_ci_u32_e64 v21, s0, v14, v12, s0
	v_sub_co_u32 v22, s0, v11, v9
	v_sub_co_ci_u32_e64 v23, s0, v12, v10, s0
	v_sub_co_u32 v24, s0, v9, v15
	s_delay_alu instid0(VALU_DEP_1) | instskip(SKIP_1) | instid1(VALU_DEP_1)
	v_sub_co_ci_u32_e64 v25, s0, v10, v16, s0
	v_sub_co_u32 v26, s0, v15, v7
	v_sub_co_ci_u32_e64 v27, s0, v16, v8, s0
	;; [unrolled: 5-line block ×3, first 2 shown]
	v_sub_co_u32 v32, s0, v3, v1
	s_delay_alu instid0(VALU_DEP_1) | instskip(SKIP_1) | instid1(VALU_DEP_1)
	v_sub_co_ci_u32_e64 v33, s0, v4, v2, s0
	v_add_co_u32 v1, s0, v17, v1
	v_add_co_ci_u32_e64 v2, s0, v18, v2, s0
	s_delay_alu instid0(VALU_DEP_4) | instskip(NEXT) | instid1(VALU_DEP_1)
	v_add_co_u32 v3, s0, v32, v3
	v_add_co_ci_u32_e64 v4, s0, v33, v4, s0
	v_add_co_u32 v5, s0, v30, v5
	s_delay_alu instid0(VALU_DEP_1) | instskip(SKIP_1) | instid1(VALU_DEP_1)
	v_add_co_ci_u32_e64 v6, s0, v31, v6, s0
	v_add_co_u32 v7, s0, v28, v7
	v_add_co_ci_u32_e64 v8, s0, v29, v8, s0
	v_add_co_u32 v15, s0, v26, v15
	s_delay_alu instid0(VALU_DEP_1) | instskip(SKIP_1) | instid1(VALU_DEP_1)
	v_add_co_ci_u32_e64 v16, s0, v27, v16, s0
	;; [unrolled: 5-line block ×3, first 2 shown]
	v_add_co_u32 v13, s0, v20, v13
	v_add_co_ci_u32_e64 v14, s0, v21, v14, s0
	s_add_i32 s1, s1, -1
	s_delay_alu instid0(SALU_CYCLE_1)
	s_cmp_lg_u32 s1, 0
	s_barrier
	buffer_gl0_inv
	s_cbranch_scc0 .LBB21_5
.LBB21_3:                               ; =>This Inner Loop Header: Depth=1
	s_waitcnt vmcnt(6)
	v_dual_mov_b32 v18, v2 :: v_dual_mov_b32 v17, v1
	s_waitcnt vmcnt(0)
	ds_store_b64 v19, v[13:14]
	s_waitcnt lgkmcnt(0)
	s_barrier
	buffer_gl0_inv
	s_and_saveexec_b32 s4, vcc_lo
	s_cbranch_execz .LBB21_2
; %bb.4:                                ;   in Loop: Header=BB21_3 Depth=1
	ds_load_b64 v[17:18], v0
	s_waitcnt lgkmcnt(0)
	v_sub_co_u32 v17, s0, v1, v17
	s_delay_alu instid0(VALU_DEP_1)
	v_sub_co_ci_u32_e64 v18, s0, v2, v18, s0
	s_branch .LBB21_2
.LBB21_5:
	s_add_u32 s0, s6, s2
	s_addc_u32 s1, s7, s3
	v_add_co_u32 v0, s2, s0, v19
	s_delay_alu instid0(VALU_DEP_1) | instskip(NEXT) | instid1(VALU_DEP_2)
	v_add_co_ci_u32_e64 v24, null, s1, 0, s2
	v_add_co_u32 v17, vcc_lo, 0x1000, v0
	s_delay_alu instid0(VALU_DEP_2)
	v_add_co_ci_u32_e32 v18, vcc_lo, 0, v24, vcc_lo
	v_add_co_u32 v20, vcc_lo, v0, 0x2000
	v_add_co_ci_u32_e32 v21, vcc_lo, 0, v24, vcc_lo
	v_add_co_u32 v22, vcc_lo, 0x2000, v0
	v_add_co_ci_u32_e32 v23, vcc_lo, 0, v24, vcc_lo
	s_waitcnt vmcnt(7)
	global_store_b64 v[20:21], v[15:16], off
	v_add_co_u32 v15, vcc_lo, 0x3000, v0
	v_add_co_ci_u32_e32 v16, vcc_lo, 0, v24, vcc_lo
	s_waitcnt vmcnt(6)
	global_store_b64 v19, v[1:2], s[0:1]
	s_waitcnt vmcnt(5)
	global_store_b64 v19, v[3:4], s[0:1] offset:2048
	s_waitcnt vmcnt(4)
	global_store_b64 v[17:18], v[7:8], off offset:2048
	s_waitcnt vmcnt(3)
	global_store_b64 v[22:23], v[9:10], off offset:2048
	s_waitcnt vmcnt(2)
	global_store_b64 v[15:16], v[11:12], off
	s_waitcnt vmcnt(1)
	global_store_b64 v[20:21], v[5:6], off offset:-4096
	s_waitcnt vmcnt(0)
	global_store_b64 v[15:16], v[13:14], off offset:2048
	s_nop 0
	s_sendmsg sendmsg(MSG_DEALLOC_VGPRS)
	s_endpgm
	.section	.rodata,"a",@progbits
	.p2align	6, 0x0
	.amdhsa_kernel _Z6kernelI13subtract_leftLj256ELj8ELb0EJPxS1_jEEvDpT3_
		.amdhsa_group_segment_fixed_size 4096
		.amdhsa_private_segment_fixed_size 0
		.amdhsa_kernarg_size 20
		.amdhsa_user_sgpr_count 15
		.amdhsa_user_sgpr_dispatch_ptr 0
		.amdhsa_user_sgpr_queue_ptr 0
		.amdhsa_user_sgpr_kernarg_segment_ptr 1
		.amdhsa_user_sgpr_dispatch_id 0
		.amdhsa_user_sgpr_private_segment_size 0
		.amdhsa_wavefront_size32 1
		.amdhsa_uses_dynamic_stack 0
		.amdhsa_enable_private_segment 0
		.amdhsa_system_sgpr_workgroup_id_x 1
		.amdhsa_system_sgpr_workgroup_id_y 0
		.amdhsa_system_sgpr_workgroup_id_z 0
		.amdhsa_system_sgpr_workgroup_info 0
		.amdhsa_system_vgpr_workitem_id 0
		.amdhsa_next_free_vgpr 34
		.amdhsa_next_free_sgpr 16
		.amdhsa_reserve_vcc 1
		.amdhsa_float_round_mode_32 0
		.amdhsa_float_round_mode_16_64 0
		.amdhsa_float_denorm_mode_32 3
		.amdhsa_float_denorm_mode_16_64 3
		.amdhsa_dx10_clamp 1
		.amdhsa_ieee_mode 1
		.amdhsa_fp16_overflow 0
		.amdhsa_workgroup_processor_mode 1
		.amdhsa_memory_ordered 1
		.amdhsa_forward_progress 0
		.amdhsa_shared_vgpr_count 0
		.amdhsa_exception_fp_ieee_invalid_op 0
		.amdhsa_exception_fp_denorm_src 0
		.amdhsa_exception_fp_ieee_div_zero 0
		.amdhsa_exception_fp_ieee_overflow 0
		.amdhsa_exception_fp_ieee_underflow 0
		.amdhsa_exception_fp_ieee_inexact 0
		.amdhsa_exception_int_div_zero 0
	.end_amdhsa_kernel
	.section	.text._Z6kernelI13subtract_leftLj256ELj8ELb0EJPxS1_jEEvDpT3_,"axG",@progbits,_Z6kernelI13subtract_leftLj256ELj8ELb0EJPxS1_jEEvDpT3_,comdat
.Lfunc_end21:
	.size	_Z6kernelI13subtract_leftLj256ELj8ELb0EJPxS1_jEEvDpT3_, .Lfunc_end21-_Z6kernelI13subtract_leftLj256ELj8ELb0EJPxS1_jEEvDpT3_
                                        ; -- End function
	.section	.AMDGPU.csdata,"",@progbits
; Kernel info:
; codeLenInByte = 812
; NumSgprs: 18
; NumVgprs: 34
; ScratchSize: 0
; MemoryBound: 0
; FloatMode: 240
; IeeeMode: 1
; LDSByteSize: 4096 bytes/workgroup (compile time only)
; SGPRBlocks: 2
; VGPRBlocks: 4
; NumSGPRsForWavesPerEU: 18
; NumVGPRsForWavesPerEU: 34
; Occupancy: 16
; WaveLimiterHint : 1
; COMPUTE_PGM_RSRC2:SCRATCH_EN: 0
; COMPUTE_PGM_RSRC2:USER_SGPR: 15
; COMPUTE_PGM_RSRC2:TRAP_HANDLER: 0
; COMPUTE_PGM_RSRC2:TGID_X_EN: 1
; COMPUTE_PGM_RSRC2:TGID_Y_EN: 0
; COMPUTE_PGM_RSRC2:TGID_Z_EN: 0
; COMPUTE_PGM_RSRC2:TIDIG_COMP_CNT: 0
	.section	.text._Z6kernelI13subtract_leftLj256ELj16ELb0EJPxS1_jEEvDpT3_,"axG",@progbits,_Z6kernelI13subtract_leftLj256ELj16ELb0EJPxS1_jEEvDpT3_,comdat
	.protected	_Z6kernelI13subtract_leftLj256ELj16ELb0EJPxS1_jEEvDpT3_ ; -- Begin function _Z6kernelI13subtract_leftLj256ELj16ELb0EJPxS1_jEEvDpT3_
	.globl	_Z6kernelI13subtract_leftLj256ELj16ELb0EJPxS1_jEEvDpT3_
	.p2align	8
	.type	_Z6kernelI13subtract_leftLj256ELj16ELb0EJPxS1_jEEvDpT3_,@function
_Z6kernelI13subtract_leftLj256ELj16ELb0EJPxS1_jEEvDpT3_: ; @_Z6kernelI13subtract_leftLj256ELj16ELb0EJPxS1_jEEvDpT3_
; %bb.0:
	s_load_b128 s[4:7], s[0:1], 0x0
	s_mov_b32 s3, 0
	s_lshl_b32 s2, s15, 12
	v_lshlrev_b32_e32 v35, 3, v0
	s_lshl_b64 s[2:3], s[2:3], 3
	s_load_b32 s1, s[0:1], 0x10
	s_waitcnt lgkmcnt(0)
	s_add_u32 s4, s4, s2
	s_addc_u32 s5, s5, s3
	v_add_co_u32 v19, s0, s4, v35
	s_delay_alu instid0(VALU_DEP_1) | instskip(SKIP_1) | instid1(VALU_DEP_2)
	v_add_co_ci_u32_e64 v20, null, s5, 0, s0
	s_cmp_eq_u32 s1, 0
	v_add_co_u32 v1, vcc_lo, 0x1000, v19
	s_delay_alu instid0(VALU_DEP_2)
	v_add_co_ci_u32_e32 v2, vcc_lo, 0, v20, vcc_lo
	v_add_co_u32 v21, vcc_lo, v19, 0x2000
	v_add_co_ci_u32_e32 v22, vcc_lo, 0, v20, vcc_lo
	v_add_co_u32 v3, vcc_lo, 0x2000, v19
	;; [unrolled: 2-line block ×3, first 2 shown]
	v_add_co_ci_u32_e32 v6, vcc_lo, 0, v20, vcc_lo
	s_clause 0x4
	global_load_b64 v[29:30], v[21:22], off
	global_load_b64 v[23:24], v35, s[4:5]
	global_load_b64 v[25:26], v35, s[4:5] offset:2048
	global_load_b64 v[27:28], v[1:2], off offset:2048
	global_load_b64 v[31:32], v[3:4], off offset:2048
	v_add_co_u32 v1, vcc_lo, v19, 0x4000
	v_add_co_ci_u32_e32 v2, vcc_lo, 0, v20, vcc_lo
	v_add_co_u32 v9, vcc_lo, 0x4000, v19
	v_add_co_ci_u32_e32 v10, vcc_lo, 0, v20, vcc_lo
	;; [unrolled: 2-line block ×6, first 2 shown]
	s_clause 0xa
	global_load_b64 v[3:4], v[1:2], off offset:-4096
	global_load_b64 v[7:8], v[1:2], off
	global_load_b64 v[11:12], v[15:16], off offset:-4096
	global_load_b64 v[15:16], v[15:16], off
	global_load_b64 v[5:6], v[5:6], off offset:2048
	global_load_b64 v[9:10], v[9:10], off offset:2048
	;; [unrolled: 1-line block ×4, first 2 shown]
	global_load_b64 v[19:20], v[33:34], off
	global_load_b64 v[1:2], v[21:22], off offset:-4096
	global_load_b64 v[21:22], v[33:34], off offset:2048
	s_cbranch_scc1 .LBB22_5
; %bb.1:
	v_cmp_ne_u32_e32 vcc_lo, 0, v0
	v_add_nc_u32_e32 v0, -8, v35
	s_branch .LBB22_3
.LBB22_2:                               ;   in Loop: Header=BB22_3 Depth=1
	s_or_b32 exec_lo, exec_lo, s4
	v_sub_co_u32 v36, s0, v21, v19
	s_delay_alu instid0(VALU_DEP_1) | instskip(SKIP_1) | instid1(VALU_DEP_1)
	v_sub_co_ci_u32_e64 v37, s0, v22, v20, s0
	v_sub_co_u32 v38, s0, v19, v17
	v_sub_co_ci_u32_e64 v39, s0, v20, v18, s0
	v_sub_co_u32 v40, s0, v17, v15
	s_delay_alu instid0(VALU_DEP_1) | instskip(SKIP_1) | instid1(VALU_DEP_1)
	v_sub_co_ci_u32_e64 v41, s0, v18, v16, s0
	v_sub_co_u32 v42, s0, v15, v13
	v_sub_co_ci_u32_e64 v43, s0, v16, v14, s0
	;; [unrolled: 5-line block ×7, first 2 shown]
	v_sub_co_u32 v64, s0, v25, v23
	s_delay_alu instid0(VALU_DEP_1) | instskip(SKIP_1) | instid1(VALU_DEP_1)
	v_sub_co_ci_u32_e64 v65, s0, v26, v24, s0
	v_add_co_u32 v23, s0, v33, v23
	v_add_co_ci_u32_e64 v24, s0, v34, v24, s0
	s_delay_alu instid0(VALU_DEP_4) | instskip(NEXT) | instid1(VALU_DEP_1)
	v_add_co_u32 v25, s0, v64, v25
	v_add_co_ci_u32_e64 v26, s0, v65, v26, s0
	v_add_co_u32 v1, s0, v62, v1
	s_delay_alu instid0(VALU_DEP_1) | instskip(SKIP_1) | instid1(VALU_DEP_1)
	v_add_co_ci_u32_e64 v2, s0, v63, v2, s0
	v_add_co_u32 v27, s0, v60, v27
	v_add_co_ci_u32_e64 v28, s0, v61, v28, s0
	v_add_co_u32 v29, s0, v58, v29
	s_delay_alu instid0(VALU_DEP_1) | instskip(SKIP_1) | instid1(VALU_DEP_1)
	v_add_co_ci_u32_e64 v30, s0, v59, v30, s0
	;; [unrolled: 5-line block ×7, first 2 shown]
	v_add_co_u32 v21, s0, v36, v21
	v_add_co_ci_u32_e64 v22, s0, v37, v22, s0
	s_add_i32 s1, s1, -1
	s_delay_alu instid0(SALU_CYCLE_1)
	s_cmp_lg_u32 s1, 0
	s_barrier
	buffer_gl0_inv
	s_cbranch_scc0 .LBB22_5
.LBB22_3:                               ; =>This Inner Loop Header: Depth=1
	s_waitcnt vmcnt(14)
	v_dual_mov_b32 v34, v24 :: v_dual_mov_b32 v33, v23
	s_waitcnt vmcnt(0)
	ds_store_b64 v35, v[21:22]
	s_waitcnt lgkmcnt(0)
	s_barrier
	buffer_gl0_inv
	s_and_saveexec_b32 s4, vcc_lo
	s_cbranch_execz .LBB22_2
; %bb.4:                                ;   in Loop: Header=BB22_3 Depth=1
	ds_load_b64 v[33:34], v0
	s_waitcnt lgkmcnt(0)
	v_sub_co_u32 v33, s0, v23, v33
	s_delay_alu instid0(VALU_DEP_1)
	v_sub_co_ci_u32_e64 v34, s0, v24, v34, s0
	s_branch .LBB22_2
.LBB22_5:
	s_add_u32 s0, s6, s2
	s_addc_u32 s1, s7, s3
	v_add_co_u32 v0, s2, s0, v35
	s_delay_alu instid0(VALU_DEP_1) | instskip(NEXT) | instid1(VALU_DEP_2)
	v_add_co_ci_u32_e64 v40, null, s1, 0, s2
	v_add_co_u32 v33, vcc_lo, 0x1000, v0
	s_delay_alu instid0(VALU_DEP_2)
	v_add_co_ci_u32_e32 v34, vcc_lo, 0, v40, vcc_lo
	v_add_co_u32 v36, vcc_lo, v0, 0x2000
	v_add_co_ci_u32_e32 v37, vcc_lo, 0, v40, vcc_lo
	v_add_co_u32 v38, vcc_lo, 0x2000, v0
	v_add_co_ci_u32_e32 v39, vcc_lo, 0, v40, vcc_lo
	s_waitcnt vmcnt(15)
	global_store_b64 v[36:37], v[29:30], off
	s_waitcnt vmcnt(14)
	global_store_b64 v35, v[23:24], s[0:1]
	s_waitcnt vmcnt(13)
	global_store_b64 v35, v[25:26], s[0:1] offset:2048
	s_waitcnt vmcnt(12)
	global_store_b64 v[33:34], v[27:28], off offset:2048
	s_waitcnt vmcnt(11)
	global_store_b64 v[38:39], v[31:32], off offset:2048
	v_add_co_u32 v23, vcc_lo, 0x3000, v0
	v_add_co_ci_u32_e32 v24, vcc_lo, 0, v40, vcc_lo
	v_add_co_u32 v25, vcc_lo, v0, 0x4000
	v_add_co_ci_u32_e32 v26, vcc_lo, 0, v40, vcc_lo
	;; [unrolled: 2-line block ×6, first 2 shown]
	s_waitcnt vmcnt(10)
	global_store_b64 v[25:26], v[3:4], off offset:-4096
	s_waitcnt vmcnt(9)
	global_store_b64 v[25:26], v[7:8], off
	s_waitcnt vmcnt(8)
	global_store_b64 v[31:32], v[11:12], off offset:-4096
	s_waitcnt vmcnt(7)
	global_store_b64 v[31:32], v[15:16], off
	v_add_co_u32 v3, vcc_lo, 0x7000, v0
	v_add_co_ci_u32_e32 v4, vcc_lo, 0, v40, vcc_lo
	s_waitcnt vmcnt(6)
	global_store_b64 v[23:24], v[5:6], off offset:2048
	s_waitcnt vmcnt(5)
	global_store_b64 v[27:28], v[9:10], off offset:2048
	;; [unrolled: 2-line block ×4, first 2 shown]
	s_waitcnt vmcnt(2)
	global_store_b64 v[3:4], v[19:20], off
	s_waitcnt vmcnt(1)
	global_store_b64 v[36:37], v[1:2], off offset:-4096
	s_waitcnt vmcnt(0)
	global_store_b64 v[3:4], v[21:22], off offset:2048
	s_nop 0
	s_sendmsg sendmsg(MSG_DEALLOC_VGPRS)
	s_endpgm
	.section	.rodata,"a",@progbits
	.p2align	6, 0x0
	.amdhsa_kernel _Z6kernelI13subtract_leftLj256ELj16ELb0EJPxS1_jEEvDpT3_
		.amdhsa_group_segment_fixed_size 4096
		.amdhsa_private_segment_fixed_size 0
		.amdhsa_kernarg_size 20
		.amdhsa_user_sgpr_count 15
		.amdhsa_user_sgpr_dispatch_ptr 0
		.amdhsa_user_sgpr_queue_ptr 0
		.amdhsa_user_sgpr_kernarg_segment_ptr 1
		.amdhsa_user_sgpr_dispatch_id 0
		.amdhsa_user_sgpr_private_segment_size 0
		.amdhsa_wavefront_size32 1
		.amdhsa_uses_dynamic_stack 0
		.amdhsa_enable_private_segment 0
		.amdhsa_system_sgpr_workgroup_id_x 1
		.amdhsa_system_sgpr_workgroup_id_y 0
		.amdhsa_system_sgpr_workgroup_id_z 0
		.amdhsa_system_sgpr_workgroup_info 0
		.amdhsa_system_vgpr_workitem_id 0
		.amdhsa_next_free_vgpr 66
		.amdhsa_next_free_sgpr 16
		.amdhsa_reserve_vcc 1
		.amdhsa_float_round_mode_32 0
		.amdhsa_float_round_mode_16_64 0
		.amdhsa_float_denorm_mode_32 3
		.amdhsa_float_denorm_mode_16_64 3
		.amdhsa_dx10_clamp 1
		.amdhsa_ieee_mode 1
		.amdhsa_fp16_overflow 0
		.amdhsa_workgroup_processor_mode 1
		.amdhsa_memory_ordered 1
		.amdhsa_forward_progress 0
		.amdhsa_shared_vgpr_count 0
		.amdhsa_exception_fp_ieee_invalid_op 0
		.amdhsa_exception_fp_denorm_src 0
		.amdhsa_exception_fp_ieee_div_zero 0
		.amdhsa_exception_fp_ieee_overflow 0
		.amdhsa_exception_fp_ieee_underflow 0
		.amdhsa_exception_fp_ieee_inexact 0
		.amdhsa_exception_int_div_zero 0
	.end_amdhsa_kernel
	.section	.text._Z6kernelI13subtract_leftLj256ELj16ELb0EJPxS1_jEEvDpT3_,"axG",@progbits,_Z6kernelI13subtract_leftLj256ELj16ELb0EJPxS1_jEEvDpT3_,comdat
.Lfunc_end22:
	.size	_Z6kernelI13subtract_leftLj256ELj16ELb0EJPxS1_jEEvDpT3_, .Lfunc_end22-_Z6kernelI13subtract_leftLj256ELj16ELb0EJPxS1_jEEvDpT3_
                                        ; -- End function
	.section	.AMDGPU.csdata,"",@progbits
; Kernel info:
; codeLenInByte = 1456
; NumSgprs: 18
; NumVgprs: 66
; ScratchSize: 0
; MemoryBound: 0
; FloatMode: 240
; IeeeMode: 1
; LDSByteSize: 4096 bytes/workgroup (compile time only)
; SGPRBlocks: 2
; VGPRBlocks: 8
; NumSGPRsForWavesPerEU: 18
; NumVGPRsForWavesPerEU: 66
; Occupancy: 16
; WaveLimiterHint : 1
; COMPUTE_PGM_RSRC2:SCRATCH_EN: 0
; COMPUTE_PGM_RSRC2:USER_SGPR: 15
; COMPUTE_PGM_RSRC2:TRAP_HANDLER: 0
; COMPUTE_PGM_RSRC2:TGID_X_EN: 1
; COMPUTE_PGM_RSRC2:TGID_Y_EN: 0
; COMPUTE_PGM_RSRC2:TGID_Z_EN: 0
; COMPUTE_PGM_RSRC2:TIDIG_COMP_CNT: 0
	.section	.text._Z6kernelI13subtract_leftLj256ELj32ELb0EJPxS1_jEEvDpT3_,"axG",@progbits,_Z6kernelI13subtract_leftLj256ELj32ELb0EJPxS1_jEEvDpT3_,comdat
	.protected	_Z6kernelI13subtract_leftLj256ELj32ELb0EJPxS1_jEEvDpT3_ ; -- Begin function _Z6kernelI13subtract_leftLj256ELj32ELb0EJPxS1_jEEvDpT3_
	.globl	_Z6kernelI13subtract_leftLj256ELj32ELb0EJPxS1_jEEvDpT3_
	.p2align	8
	.type	_Z6kernelI13subtract_leftLj256ELj32ELb0EJPxS1_jEEvDpT3_,@function
_Z6kernelI13subtract_leftLj256ELj32ELb0EJPxS1_jEEvDpT3_: ; @_Z6kernelI13subtract_leftLj256ELj32ELb0EJPxS1_jEEvDpT3_
; %bb.0:
	s_load_b128 s[4:7], s[0:1], 0x0
	s_mov_b32 s3, 0
	s_lshl_b32 s2, s15, 13
	v_lshlrev_b32_e32 v67, 3, v0
	s_lshl_b64 s[2:3], s[2:3], 3
	s_load_b32 s1, s[0:1], 0x10
	s_waitcnt lgkmcnt(0)
	s_add_u32 s4, s4, s2
	s_addc_u32 s5, s5, s3
	v_add_co_u32 v51, s0, s4, v67
	s_delay_alu instid0(VALU_DEP_1) | instskip(SKIP_1) | instid1(VALU_DEP_2)
	v_add_co_ci_u32_e64 v52, null, s5, 0, s0
	s_cmp_eq_u32 s1, 0
	v_add_co_u32 v1, vcc_lo, 0x1000, v51
	s_delay_alu instid0(VALU_DEP_2)
	v_add_co_ci_u32_e32 v2, vcc_lo, 0, v52, vcc_lo
	v_add_co_u32 v53, vcc_lo, v51, 0x2000
	v_add_co_ci_u32_e32 v54, vcc_lo, 0, v52, vcc_lo
	v_add_co_u32 v3, vcc_lo, 0x2000, v51
	;; [unrolled: 2-line block ×3, first 2 shown]
	v_add_co_ci_u32_e32 v6, vcc_lo, 0, v52, vcc_lo
	s_clause 0x4
	global_load_b64 v[61:62], v[53:54], off
	global_load_b64 v[55:56], v67, s[4:5]
	global_load_b64 v[57:58], v67, s[4:5] offset:2048
	global_load_b64 v[59:60], v[1:2], off offset:2048
	global_load_b64 v[63:64], v[3:4], off offset:2048
	v_add_co_u32 v1, vcc_lo, v51, 0x4000
	v_add_co_ci_u32_e32 v2, vcc_lo, 0, v52, vcc_lo
	v_add_co_u32 v9, vcc_lo, 0x4000, v51
	v_add_co_ci_u32_e32 v10, vcc_lo, 0, v52, vcc_lo
	;; [unrolled: 2-line block ×5, first 2 shown]
	s_clause 0x7
	global_load_b64 v[3:4], v[1:2], off offset:-4096
	global_load_b64 v[7:8], v[1:2], off
	global_load_b64 v[11:12], v[15:16], off offset:-4096
	global_load_b64 v[15:16], v[15:16], off
	global_load_b64 v[5:6], v[5:6], off offset:2048
	global_load_b64 v[9:10], v[9:10], off offset:2048
	;; [unrolled: 1-line block ×4, first 2 shown]
	v_add_co_u32 v1, vcc_lo, 0x7000, v51
	v_add_co_ci_u32_e32 v2, vcc_lo, 0, v52, vcc_lo
	v_add_co_u32 v21, vcc_lo, v51, 0x8000
	v_add_co_ci_u32_e32 v22, vcc_lo, 0, v52, vcc_lo
	;; [unrolled: 2-line block ×6, first 2 shown]
	s_clause 0x7
	global_load_b64 v[19:20], v[21:22], off offset:-4096
	global_load_b64 v[23:24], v[21:22], off
	global_load_b64 v[27:28], v[31:32], off offset:-4096
	global_load_b64 v[31:32], v[31:32], off
	global_load_b64 v[21:22], v[1:2], off offset:2048
	global_load_b64 v[25:26], v[25:26], off offset:2048
	;; [unrolled: 1-line block ×4, first 2 shown]
	v_add_co_u32 v1, vcc_lo, 0xb000, v51
	v_add_co_ci_u32_e32 v2, vcc_lo, 0, v52, vcc_lo
	v_add_co_u32 v37, vcc_lo, v51, 0xc000
	v_add_co_ci_u32_e32 v38, vcc_lo, 0, v52, vcc_lo
	;; [unrolled: 2-line block ×7, first 2 shown]
	s_clause 0xa
	global_load_b64 v[35:36], v[37:38], off offset:-4096
	global_load_b64 v[39:40], v[37:38], off
	global_load_b64 v[43:44], v[47:48], off offset:-4096
	global_load_b64 v[47:48], v[47:48], off
	global_load_b64 v[37:38], v[1:2], off offset:2048
	global_load_b64 v[41:42], v[41:42], off offset:2048
	;; [unrolled: 1-line block ×4, first 2 shown]
	global_load_b64 v[51:52], v[65:66], off
	global_load_b64 v[1:2], v[53:54], off offset:-4096
	global_load_b64 v[53:54], v[65:66], off offset:2048
	s_cbranch_scc1 .LBB23_5
; %bb.1:
	v_cmp_ne_u32_e32 vcc_lo, 0, v0
	v_add_nc_u32_e32 v0, -8, v67
	s_branch .LBB23_3
.LBB23_2:                               ;   in Loop: Header=BB23_3 Depth=1
	s_or_b32 exec_lo, exec_lo, s4
	v_sub_co_u32 v68, s0, v53, v51
	s_delay_alu instid0(VALU_DEP_1) | instskip(SKIP_1) | instid1(VALU_DEP_1)
	v_sub_co_ci_u32_e64 v69, s0, v54, v52, s0
	v_sub_co_u32 v70, s0, v51, v49
	v_sub_co_ci_u32_e64 v71, s0, v52, v50, s0
	v_sub_co_u32 v72, s0, v49, v47
	s_delay_alu instid0(VALU_DEP_1) | instskip(SKIP_1) | instid1(VALU_DEP_1)
	v_sub_co_ci_u32_e64 v73, s0, v50, v48, s0
	v_sub_co_u32 v74, s0, v47, v45
	v_sub_co_ci_u32_e64 v75, s0, v48, v46, s0
	;; [unrolled: 5-line block ×6, first 2 shown]
	v_sub_co_u32 v92, s0, v57, v55
	s_delay_alu instid0(VALU_DEP_1) | instskip(SKIP_1) | instid1(VALU_DEP_1)
	v_sub_co_ci_u32_e64 v93, s0, v58, v56, s0
	v_add_co_u32 v55, s0, v65, v55
	v_add_co_ci_u32_e64 v56, s0, v66, v56, s0
	v_sub_co_u32 v65, s0, v1, v57
	s_delay_alu instid0(VALU_DEP_1) | instskip(SKIP_1) | instid1(VALU_DEP_1)
	v_sub_co_ci_u32_e64 v66, s0, v2, v58, s0
	v_add_co_u32 v57, s0, v92, v57
	v_add_co_ci_u32_e64 v58, s0, v93, v58, s0
	;; [unrolled: 5-line block ×19, first 2 shown]
	s_delay_alu instid0(VALU_DEP_4) | instskip(NEXT) | instid1(VALU_DEP_1)
	v_add_co_u32 v29, s0, v92, v29
	v_add_co_ci_u32_e64 v30, s0, v93, v30, s0
	v_add_co_u32 v31, s0, v90, v31
	s_delay_alu instid0(VALU_DEP_1) | instskip(SKIP_1) | instid1(VALU_DEP_1)
	v_add_co_ci_u32_e64 v32, s0, v91, v32, s0
	v_add_co_u32 v33, s0, v88, v33
	v_add_co_ci_u32_e64 v34, s0, v89, v34, s0
	v_add_co_u32 v35, s0, v86, v35
	s_delay_alu instid0(VALU_DEP_1) | instskip(SKIP_1) | instid1(VALU_DEP_1)
	v_add_co_ci_u32_e64 v36, s0, v87, v36, s0
	;; [unrolled: 5-line block ×6, first 2 shown]
	v_add_co_u32 v53, s0, v68, v53
	v_add_co_ci_u32_e64 v54, s0, v69, v54, s0
	s_add_i32 s1, s1, -1
	s_delay_alu instid0(SALU_CYCLE_1)
	s_cmp_lg_u32 s1, 0
	s_barrier
	buffer_gl0_inv
	s_cbranch_scc0 .LBB23_5
.LBB23_3:                               ; =>This Inner Loop Header: Depth=1
	s_waitcnt vmcnt(30)
	v_dual_mov_b32 v66, v56 :: v_dual_mov_b32 v65, v55
	s_waitcnt vmcnt(0)
	ds_store_b64 v67, v[53:54]
	s_waitcnt lgkmcnt(0)
	s_barrier
	buffer_gl0_inv
	s_and_saveexec_b32 s4, vcc_lo
	s_cbranch_execz .LBB23_2
; %bb.4:                                ;   in Loop: Header=BB23_3 Depth=1
	ds_load_b64 v[65:66], v0
	s_waitcnt lgkmcnt(0)
	v_sub_co_u32 v65, s0, v55, v65
	s_delay_alu instid0(VALU_DEP_1)
	v_sub_co_ci_u32_e64 v66, s0, v56, v66, s0
	s_branch .LBB23_2
.LBB23_5:
	s_add_u32 s0, s6, s2
	s_addc_u32 s1, s7, s3
	v_add_co_u32 v0, s2, s0, v67
	s_delay_alu instid0(VALU_DEP_1) | instskip(NEXT) | instid1(VALU_DEP_2)
	v_add_co_ci_u32_e64 v72, null, s1, 0, s2
	v_add_co_u32 v65, vcc_lo, 0x1000, v0
	s_delay_alu instid0(VALU_DEP_2)
	v_add_co_ci_u32_e32 v66, vcc_lo, 0, v72, vcc_lo
	v_add_co_u32 v68, vcc_lo, v0, 0x2000
	v_add_co_ci_u32_e32 v69, vcc_lo, 0, v72, vcc_lo
	v_add_co_u32 v70, vcc_lo, 0x2000, v0
	v_add_co_ci_u32_e32 v71, vcc_lo, 0, v72, vcc_lo
	s_waitcnt vmcnt(31)
	global_store_b64 v[68:69], v[61:62], off
	s_waitcnt vmcnt(30)
	global_store_b64 v67, v[55:56], s[0:1]
	s_waitcnt vmcnt(29)
	global_store_b64 v67, v[57:58], s[0:1] offset:2048
	s_waitcnt vmcnt(28)
	global_store_b64 v[65:66], v[59:60], off offset:2048
	s_waitcnt vmcnt(27)
	global_store_b64 v[70:71], v[63:64], off offset:2048
	v_add_co_u32 v55, vcc_lo, 0x3000, v0
	v_add_co_ci_u32_e32 v56, vcc_lo, 0, v72, vcc_lo
	v_add_co_u32 v57, vcc_lo, v0, 0x4000
	v_add_co_ci_u32_e32 v58, vcc_lo, 0, v72, vcc_lo
	;; [unrolled: 2-line block ×6, first 2 shown]
	s_waitcnt vmcnt(26)
	global_store_b64 v[57:58], v[3:4], off offset:-4096
	s_waitcnt vmcnt(25)
	global_store_b64 v[57:58], v[7:8], off
	s_waitcnt vmcnt(24)
	global_store_b64 v[63:64], v[11:12], off offset:-4096
	s_waitcnt vmcnt(23)
	global_store_b64 v[63:64], v[15:16], off
	s_waitcnt vmcnt(22)
	global_store_b64 v[55:56], v[5:6], off offset:2048
	s_waitcnt vmcnt(21)
	global_store_b64 v[59:60], v[9:10], off offset:2048
	;; [unrolled: 2-line block ×4, first 2 shown]
	v_add_co_u32 v3, vcc_lo, 0x7000, v0
	v_add_co_ci_u32_e32 v4, vcc_lo, 0, v72, vcc_lo
	v_add_co_u32 v5, vcc_lo, v0, 0x8000
	v_add_co_ci_u32_e32 v6, vcc_lo, 0, v72, vcc_lo
	;; [unrolled: 2-line block ×6, first 2 shown]
	s_waitcnt vmcnt(18)
	global_store_b64 v[5:6], v[19:20], off offset:-4096
	s_waitcnt vmcnt(17)
	global_store_b64 v[5:6], v[23:24], off
	s_waitcnt vmcnt(16)
	global_store_b64 v[11:12], v[27:28], off offset:-4096
	s_waitcnt vmcnt(15)
	global_store_b64 v[11:12], v[31:32], off
	s_waitcnt vmcnt(14)
	global_store_b64 v[3:4], v[21:22], off offset:2048
	s_waitcnt vmcnt(13)
	global_store_b64 v[7:8], v[25:26], off offset:2048
	;; [unrolled: 2-line block ×4, first 2 shown]
	v_add_co_u32 v3, vcc_lo, 0xb000, v0
	v_add_co_ci_u32_e32 v4, vcc_lo, 0, v72, vcc_lo
	v_add_co_u32 v5, vcc_lo, v0, 0xc000
	v_add_co_ci_u32_e32 v6, vcc_lo, 0, v72, vcc_lo
	v_add_co_u32 v7, vcc_lo, 0xc000, v0
	v_add_co_ci_u32_e32 v8, vcc_lo, 0, v72, vcc_lo
	v_add_co_u32 v9, vcc_lo, 0xd000, v0
	v_add_co_ci_u32_e32 v10, vcc_lo, 0, v72, vcc_lo
	v_add_co_u32 v11, vcc_lo, v0, 0xe000
	v_add_co_ci_u32_e32 v12, vcc_lo, 0, v72, vcc_lo
	v_add_co_u32 v13, vcc_lo, 0xe000, v0
	v_add_co_ci_u32_e32 v14, vcc_lo, 0, v72, vcc_lo
	s_waitcnt vmcnt(10)
	global_store_b64 v[5:6], v[35:36], off offset:-4096
	s_waitcnt vmcnt(9)
	global_store_b64 v[5:6], v[39:40], off
	s_waitcnt vmcnt(8)
	global_store_b64 v[11:12], v[43:44], off offset:-4096
	s_waitcnt vmcnt(7)
	global_store_b64 v[11:12], v[47:48], off
	v_add_co_u32 v5, vcc_lo, 0xf000, v0
	v_add_co_ci_u32_e32 v6, vcc_lo, 0, v72, vcc_lo
	s_waitcnt vmcnt(6)
	global_store_b64 v[3:4], v[37:38], off offset:2048
	s_waitcnt vmcnt(5)
	global_store_b64 v[7:8], v[41:42], off offset:2048
	;; [unrolled: 2-line block ×4, first 2 shown]
	s_waitcnt vmcnt(2)
	global_store_b64 v[5:6], v[51:52], off
	s_waitcnt vmcnt(1)
	global_store_b64 v[68:69], v[1:2], off offset:-4096
	s_waitcnt vmcnt(0)
	global_store_b64 v[5:6], v[53:54], off offset:2048
	s_nop 0
	s_sendmsg sendmsg(MSG_DEALLOC_VGPRS)
	s_endpgm
	.section	.rodata,"a",@progbits
	.p2align	6, 0x0
	.amdhsa_kernel _Z6kernelI13subtract_leftLj256ELj32ELb0EJPxS1_jEEvDpT3_
		.amdhsa_group_segment_fixed_size 4096
		.amdhsa_private_segment_fixed_size 0
		.amdhsa_kernarg_size 20
		.amdhsa_user_sgpr_count 15
		.amdhsa_user_sgpr_dispatch_ptr 0
		.amdhsa_user_sgpr_queue_ptr 0
		.amdhsa_user_sgpr_kernarg_segment_ptr 1
		.amdhsa_user_sgpr_dispatch_id 0
		.amdhsa_user_sgpr_private_segment_size 0
		.amdhsa_wavefront_size32 1
		.amdhsa_uses_dynamic_stack 0
		.amdhsa_enable_private_segment 0
		.amdhsa_system_sgpr_workgroup_id_x 1
		.amdhsa_system_sgpr_workgroup_id_y 0
		.amdhsa_system_sgpr_workgroup_id_z 0
		.amdhsa_system_sgpr_workgroup_info 0
		.amdhsa_system_vgpr_workitem_id 0
		.amdhsa_next_free_vgpr 94
		.amdhsa_next_free_sgpr 16
		.amdhsa_reserve_vcc 1
		.amdhsa_float_round_mode_32 0
		.amdhsa_float_round_mode_16_64 0
		.amdhsa_float_denorm_mode_32 3
		.amdhsa_float_denorm_mode_16_64 3
		.amdhsa_dx10_clamp 1
		.amdhsa_ieee_mode 1
		.amdhsa_fp16_overflow 0
		.amdhsa_workgroup_processor_mode 1
		.amdhsa_memory_ordered 1
		.amdhsa_forward_progress 0
		.amdhsa_shared_vgpr_count 0
		.amdhsa_exception_fp_ieee_invalid_op 0
		.amdhsa_exception_fp_denorm_src 0
		.amdhsa_exception_fp_ieee_div_zero 0
		.amdhsa_exception_fp_ieee_overflow 0
		.amdhsa_exception_fp_ieee_underflow 0
		.amdhsa_exception_fp_ieee_inexact 0
		.amdhsa_exception_int_div_zero 0
	.end_amdhsa_kernel
	.section	.text._Z6kernelI13subtract_leftLj256ELj32ELb0EJPxS1_jEEvDpT3_,"axG",@progbits,_Z6kernelI13subtract_leftLj256ELj32ELb0EJPxS1_jEEvDpT3_,comdat
.Lfunc_end23:
	.size	_Z6kernelI13subtract_leftLj256ELj32ELb0EJPxS1_jEEvDpT3_, .Lfunc_end23-_Z6kernelI13subtract_leftLj256ELj32ELb0EJPxS1_jEEvDpT3_
                                        ; -- End function
	.section	.AMDGPU.csdata,"",@progbits
; Kernel info:
; codeLenInByte = 2744
; NumSgprs: 18
; NumVgprs: 94
; ScratchSize: 0
; MemoryBound: 0
; FloatMode: 240
; IeeeMode: 1
; LDSByteSize: 4096 bytes/workgroup (compile time only)
; SGPRBlocks: 2
; VGPRBlocks: 11
; NumSGPRsForWavesPerEU: 18
; NumVGPRsForWavesPerEU: 94
; Occupancy: 16
; WaveLimiterHint : 1
; COMPUTE_PGM_RSRC2:SCRATCH_EN: 0
; COMPUTE_PGM_RSRC2:USER_SGPR: 15
; COMPUTE_PGM_RSRC2:TRAP_HANDLER: 0
; COMPUTE_PGM_RSRC2:TGID_X_EN: 1
; COMPUTE_PGM_RSRC2:TGID_Y_EN: 0
; COMPUTE_PGM_RSRC2:TGID_Z_EN: 0
; COMPUTE_PGM_RSRC2:TIDIG_COMP_CNT: 0
	.section	.text._Z6kernelI13subtract_leftLj256ELj1ELb0EJPdS1_jEEvDpT3_,"axG",@progbits,_Z6kernelI13subtract_leftLj256ELj1ELb0EJPdS1_jEEvDpT3_,comdat
	.protected	_Z6kernelI13subtract_leftLj256ELj1ELb0EJPdS1_jEEvDpT3_ ; -- Begin function _Z6kernelI13subtract_leftLj256ELj1ELb0EJPdS1_jEEvDpT3_
	.globl	_Z6kernelI13subtract_leftLj256ELj1ELb0EJPdS1_jEEvDpT3_
	.p2align	8
	.type	_Z6kernelI13subtract_leftLj256ELj1ELb0EJPdS1_jEEvDpT3_,@function
_Z6kernelI13subtract_leftLj256ELj1ELb0EJPdS1_jEEvDpT3_: ; @_Z6kernelI13subtract_leftLj256ELj1ELb0EJPdS1_jEEvDpT3_
; %bb.0:
	s_load_b128 s[4:7], s[0:1], 0x0
	s_lshl_b32 s2, s15, 8
	s_mov_b32 s3, 0
	v_lshlrev_b32_e32 v5, 3, v0
	s_lshl_b64 s[2:3], s[2:3], 3
	s_load_b32 s0, s[0:1], 0x10
	s_waitcnt lgkmcnt(0)
	s_add_u32 s4, s4, s2
	s_addc_u32 s5, s5, s3
	global_load_b64 v[1:2], v5, s[4:5]
	s_cmp_eq_u32 s0, 0
	s_cbranch_scc1 .LBB24_5
; %bb.1:
	v_cmp_ne_u32_e32 vcc_lo, 0, v0
	v_add_nc_u32_e32 v0, -8, v5
	s_branch .LBB24_3
	.p2align	6
.LBB24_2:                               ;   in Loop: Header=BB24_3 Depth=1
	s_or_b32 exec_lo, exec_lo, s1
	s_delay_alu instid0(VALU_DEP_1) | instskip(SKIP_1) | instid1(SALU_CYCLE_1)
	v_add_f64 v[1:2], v[1:2], v[3:4]
	s_add_i32 s0, s0, -1
	s_cmp_lg_u32 s0, 0
	s_barrier
	buffer_gl0_inv
	s_cbranch_scc0 .LBB24_5
.LBB24_3:                               ; =>This Inner Loop Header: Depth=1
	s_waitcnt vmcnt(0)
	v_dual_mov_b32 v4, v2 :: v_dual_mov_b32 v3, v1
	ds_store_b64 v5, v[1:2]
	s_waitcnt lgkmcnt(0)
	s_barrier
	buffer_gl0_inv
	s_and_saveexec_b32 s1, vcc_lo
	s_cbranch_execz .LBB24_2
; %bb.4:                                ;   in Loop: Header=BB24_3 Depth=1
	ds_load_b64 v[3:4], v0
	s_waitcnt lgkmcnt(0)
	v_add_f64 v[3:4], v[1:2], -v[3:4]
	s_branch .LBB24_2
.LBB24_5:
	s_add_u32 s0, s6, s2
	s_addc_u32 s1, s7, s3
	s_waitcnt vmcnt(0)
	global_store_b64 v5, v[1:2], s[0:1]
	s_nop 0
	s_sendmsg sendmsg(MSG_DEALLOC_VGPRS)
	s_endpgm
	.section	.rodata,"a",@progbits
	.p2align	6, 0x0
	.amdhsa_kernel _Z6kernelI13subtract_leftLj256ELj1ELb0EJPdS1_jEEvDpT3_
		.amdhsa_group_segment_fixed_size 4096
		.amdhsa_private_segment_fixed_size 0
		.amdhsa_kernarg_size 20
		.amdhsa_user_sgpr_count 15
		.amdhsa_user_sgpr_dispatch_ptr 0
		.amdhsa_user_sgpr_queue_ptr 0
		.amdhsa_user_sgpr_kernarg_segment_ptr 1
		.amdhsa_user_sgpr_dispatch_id 0
		.amdhsa_user_sgpr_private_segment_size 0
		.amdhsa_wavefront_size32 1
		.amdhsa_uses_dynamic_stack 0
		.amdhsa_enable_private_segment 0
		.amdhsa_system_sgpr_workgroup_id_x 1
		.amdhsa_system_sgpr_workgroup_id_y 0
		.amdhsa_system_sgpr_workgroup_id_z 0
		.amdhsa_system_sgpr_workgroup_info 0
		.amdhsa_system_vgpr_workitem_id 0
		.amdhsa_next_free_vgpr 6
		.amdhsa_next_free_sgpr 16
		.amdhsa_reserve_vcc 1
		.amdhsa_float_round_mode_32 0
		.amdhsa_float_round_mode_16_64 0
		.amdhsa_float_denorm_mode_32 3
		.amdhsa_float_denorm_mode_16_64 3
		.amdhsa_dx10_clamp 1
		.amdhsa_ieee_mode 1
		.amdhsa_fp16_overflow 0
		.amdhsa_workgroup_processor_mode 1
		.amdhsa_memory_ordered 1
		.amdhsa_forward_progress 0
		.amdhsa_shared_vgpr_count 0
		.amdhsa_exception_fp_ieee_invalid_op 0
		.amdhsa_exception_fp_denorm_src 0
		.amdhsa_exception_fp_ieee_div_zero 0
		.amdhsa_exception_fp_ieee_overflow 0
		.amdhsa_exception_fp_ieee_underflow 0
		.amdhsa_exception_fp_ieee_inexact 0
		.amdhsa_exception_int_div_zero 0
	.end_amdhsa_kernel
	.section	.text._Z6kernelI13subtract_leftLj256ELj1ELb0EJPdS1_jEEvDpT3_,"axG",@progbits,_Z6kernelI13subtract_leftLj256ELj1ELb0EJPdS1_jEEvDpT3_,comdat
.Lfunc_end24:
	.size	_Z6kernelI13subtract_leftLj256ELj1ELb0EJPdS1_jEEvDpT3_, .Lfunc_end24-_Z6kernelI13subtract_leftLj256ELj1ELb0EJPdS1_jEEvDpT3_
                                        ; -- End function
	.section	.AMDGPU.csdata,"",@progbits
; Kernel info:
; codeLenInByte = 212
; NumSgprs: 18
; NumVgprs: 6
; ScratchSize: 0
; MemoryBound: 0
; FloatMode: 240
; IeeeMode: 1
; LDSByteSize: 4096 bytes/workgroup (compile time only)
; SGPRBlocks: 2
; VGPRBlocks: 0
; NumSGPRsForWavesPerEU: 18
; NumVGPRsForWavesPerEU: 6
; Occupancy: 16
; WaveLimiterHint : 0
; COMPUTE_PGM_RSRC2:SCRATCH_EN: 0
; COMPUTE_PGM_RSRC2:USER_SGPR: 15
; COMPUTE_PGM_RSRC2:TRAP_HANDLER: 0
; COMPUTE_PGM_RSRC2:TGID_X_EN: 1
; COMPUTE_PGM_RSRC2:TGID_Y_EN: 0
; COMPUTE_PGM_RSRC2:TGID_Z_EN: 0
; COMPUTE_PGM_RSRC2:TIDIG_COMP_CNT: 0
	.section	.text._Z6kernelI13subtract_leftLj256ELj3ELb0EJPdS1_jEEvDpT3_,"axG",@progbits,_Z6kernelI13subtract_leftLj256ELj3ELb0EJPdS1_jEEvDpT3_,comdat
	.protected	_Z6kernelI13subtract_leftLj256ELj3ELb0EJPdS1_jEEvDpT3_ ; -- Begin function _Z6kernelI13subtract_leftLj256ELj3ELb0EJPdS1_jEEvDpT3_
	.globl	_Z6kernelI13subtract_leftLj256ELj3ELb0EJPdS1_jEEvDpT3_
	.p2align	8
	.type	_Z6kernelI13subtract_leftLj256ELj3ELb0EJPdS1_jEEvDpT3_,@function
_Z6kernelI13subtract_leftLj256ELj3ELb0EJPdS1_jEEvDpT3_: ; @_Z6kernelI13subtract_leftLj256ELj3ELb0EJPdS1_jEEvDpT3_
; %bb.0:
	s_load_b128 s[4:7], s[0:1], 0x0
	s_mov_b32 s3, 0
	s_mul_i32 s2, s15, 0x300
	v_lshlrev_b32_e32 v9, 3, v0
	s_lshl_b64 s[2:3], s[2:3], 3
	s_load_b32 s0, s[0:1], 0x10
	s_waitcnt lgkmcnt(0)
	s_add_u32 s4, s4, s2
	s_addc_u32 s5, s5, s3
	v_add_co_u32 v1, s1, s4, v9
	s_delay_alu instid0(VALU_DEP_1) | instskip(SKIP_1) | instid1(VALU_DEP_2)
	v_add_co_ci_u32_e64 v2, null, s5, 0, s1
	s_cmp_eq_u32 s0, 0
	v_add_co_u32 v1, vcc_lo, 0x1000, v1
	s_delay_alu instid0(VALU_DEP_2)
	v_add_co_ci_u32_e32 v2, vcc_lo, 0, v2, vcc_lo
	s_clause 0x2
	global_load_b64 v[5:6], v9, s[4:5]
	global_load_b64 v[3:4], v9, s[4:5] offset:2048
	global_load_b64 v[1:2], v[1:2], off
	s_cbranch_scc1 .LBB25_5
; %bb.1:
	v_cmp_ne_u32_e32 vcc_lo, 0, v0
	v_add_nc_u32_e32 v0, -8, v9
	s_set_inst_prefetch_distance 0x1
	s_branch .LBB25_3
	.p2align	6
.LBB25_2:                               ;   in Loop: Header=BB25_3 Depth=1
	s_or_b32 exec_lo, exec_lo, s1
	v_add_f64 v[10:11], v[3:4], -v[5:6]
	v_add_f64 v[12:13], v[1:2], -v[3:4]
	s_delay_alu instid0(VALU_DEP_3) | instskip(SKIP_1) | instid1(SALU_CYCLE_1)
	v_add_f64 v[5:6], v[5:6], v[7:8]
	s_add_i32 s0, s0, -1
	s_cmp_lg_u32 s0, 0
	s_barrier
	buffer_gl0_inv
	v_add_f64 v[3:4], v[3:4], v[10:11]
	v_add_f64 v[1:2], v[1:2], v[12:13]
	s_cbranch_scc0 .LBB25_5
.LBB25_3:                               ; =>This Inner Loop Header: Depth=1
	s_waitcnt vmcnt(2)
	v_dual_mov_b32 v8, v6 :: v_dual_mov_b32 v7, v5
	s_waitcnt vmcnt(0)
	ds_store_b64 v9, v[1:2]
	s_waitcnt lgkmcnt(0)
	s_barrier
	buffer_gl0_inv
	s_and_saveexec_b32 s1, vcc_lo
	s_cbranch_execz .LBB25_2
; %bb.4:                                ;   in Loop: Header=BB25_3 Depth=1
	ds_load_b64 v[7:8], v0
	s_waitcnt lgkmcnt(0)
	v_add_f64 v[7:8], v[5:6], -v[7:8]
	s_branch .LBB25_2
.LBB25_5:
	s_set_inst_prefetch_distance 0x2
	s_add_u32 s0, s6, s2
	s_addc_u32 s1, s7, s3
	v_add_co_u32 v0, s2, s0, v9
	s_delay_alu instid0(VALU_DEP_1) | instskip(NEXT) | instid1(VALU_DEP_2)
	v_add_co_ci_u32_e64 v8, null, s1, 0, s2
	v_add_co_u32 v7, vcc_lo, 0x1000, v0
	s_delay_alu instid0(VALU_DEP_2)
	v_add_co_ci_u32_e32 v8, vcc_lo, 0, v8, vcc_lo
	s_waitcnt vmcnt(2)
	global_store_b64 v9, v[5:6], s[0:1]
	s_waitcnt vmcnt(1)
	global_store_b64 v9, v[3:4], s[0:1] offset:2048
	s_waitcnt vmcnt(0)
	global_store_b64 v[7:8], v[1:2], off
	s_nop 0
	s_sendmsg sendmsg(MSG_DEALLOC_VGPRS)
	s_endpgm
	.section	.rodata,"a",@progbits
	.p2align	6, 0x0
	.amdhsa_kernel _Z6kernelI13subtract_leftLj256ELj3ELb0EJPdS1_jEEvDpT3_
		.amdhsa_group_segment_fixed_size 4096
		.amdhsa_private_segment_fixed_size 0
		.amdhsa_kernarg_size 20
		.amdhsa_user_sgpr_count 15
		.amdhsa_user_sgpr_dispatch_ptr 0
		.amdhsa_user_sgpr_queue_ptr 0
		.amdhsa_user_sgpr_kernarg_segment_ptr 1
		.amdhsa_user_sgpr_dispatch_id 0
		.amdhsa_user_sgpr_private_segment_size 0
		.amdhsa_wavefront_size32 1
		.amdhsa_uses_dynamic_stack 0
		.amdhsa_enable_private_segment 0
		.amdhsa_system_sgpr_workgroup_id_x 1
		.amdhsa_system_sgpr_workgroup_id_y 0
		.amdhsa_system_sgpr_workgroup_id_z 0
		.amdhsa_system_sgpr_workgroup_info 0
		.amdhsa_system_vgpr_workitem_id 0
		.amdhsa_next_free_vgpr 14
		.amdhsa_next_free_sgpr 16
		.amdhsa_reserve_vcc 1
		.amdhsa_float_round_mode_32 0
		.amdhsa_float_round_mode_16_64 0
		.amdhsa_float_denorm_mode_32 3
		.amdhsa_float_denorm_mode_16_64 3
		.amdhsa_dx10_clamp 1
		.amdhsa_ieee_mode 1
		.amdhsa_fp16_overflow 0
		.amdhsa_workgroup_processor_mode 1
		.amdhsa_memory_ordered 1
		.amdhsa_forward_progress 0
		.amdhsa_shared_vgpr_count 0
		.amdhsa_exception_fp_ieee_invalid_op 0
		.amdhsa_exception_fp_denorm_src 0
		.amdhsa_exception_fp_ieee_div_zero 0
		.amdhsa_exception_fp_ieee_overflow 0
		.amdhsa_exception_fp_ieee_underflow 0
		.amdhsa_exception_fp_ieee_inexact 0
		.amdhsa_exception_int_div_zero 0
	.end_amdhsa_kernel
	.section	.text._Z6kernelI13subtract_leftLj256ELj3ELb0EJPdS1_jEEvDpT3_,"axG",@progbits,_Z6kernelI13subtract_leftLj256ELj3ELb0EJPdS1_jEEvDpT3_,comdat
.Lfunc_end25:
	.size	_Z6kernelI13subtract_leftLj256ELj3ELb0EJPdS1_jEEvDpT3_, .Lfunc_end25-_Z6kernelI13subtract_leftLj256ELj3ELb0EJPdS1_jEEvDpT3_
                                        ; -- End function
	.section	.AMDGPU.csdata,"",@progbits
; Kernel info:
; codeLenInByte = 384
; NumSgprs: 18
; NumVgprs: 14
; ScratchSize: 0
; MemoryBound: 0
; FloatMode: 240
; IeeeMode: 1
; LDSByteSize: 4096 bytes/workgroup (compile time only)
; SGPRBlocks: 2
; VGPRBlocks: 1
; NumSGPRsForWavesPerEU: 18
; NumVGPRsForWavesPerEU: 14
; Occupancy: 16
; WaveLimiterHint : 1
; COMPUTE_PGM_RSRC2:SCRATCH_EN: 0
; COMPUTE_PGM_RSRC2:USER_SGPR: 15
; COMPUTE_PGM_RSRC2:TRAP_HANDLER: 0
; COMPUTE_PGM_RSRC2:TGID_X_EN: 1
; COMPUTE_PGM_RSRC2:TGID_Y_EN: 0
; COMPUTE_PGM_RSRC2:TGID_Z_EN: 0
; COMPUTE_PGM_RSRC2:TIDIG_COMP_CNT: 0
	.section	.text._Z6kernelI13subtract_leftLj256ELj4ELb0EJPdS1_jEEvDpT3_,"axG",@progbits,_Z6kernelI13subtract_leftLj256ELj4ELb0EJPdS1_jEEvDpT3_,comdat
	.protected	_Z6kernelI13subtract_leftLj256ELj4ELb0EJPdS1_jEEvDpT3_ ; -- Begin function _Z6kernelI13subtract_leftLj256ELj4ELb0EJPdS1_jEEvDpT3_
	.globl	_Z6kernelI13subtract_leftLj256ELj4ELb0EJPdS1_jEEvDpT3_
	.p2align	8
	.type	_Z6kernelI13subtract_leftLj256ELj4ELb0EJPdS1_jEEvDpT3_,@function
_Z6kernelI13subtract_leftLj256ELj4ELb0EJPdS1_jEEvDpT3_: ; @_Z6kernelI13subtract_leftLj256ELj4ELb0EJPdS1_jEEvDpT3_
; %bb.0:
	s_load_b128 s[4:7], s[0:1], 0x0
	s_mov_b32 s3, 0
	s_lshl_b32 s2, s15, 10
	v_lshlrev_b32_e32 v11, 3, v0
	s_lshl_b64 s[2:3], s[2:3], 3
	s_load_b32 s0, s[0:1], 0x10
	s_waitcnt lgkmcnt(0)
	s_add_u32 s4, s4, s2
	s_addc_u32 s5, s5, s3
	v_add_co_u32 v1, s1, s4, v11
	s_delay_alu instid0(VALU_DEP_1) | instskip(SKIP_1) | instid1(VALU_DEP_2)
	v_add_co_ci_u32_e64 v2, null, s5, 0, s1
	s_cmp_eq_u32 s0, 0
	v_add_co_u32 v1, vcc_lo, 0x1000, v1
	s_delay_alu instid0(VALU_DEP_2)
	v_add_co_ci_u32_e32 v2, vcc_lo, 0, v2, vcc_lo
	s_clause 0x3
	global_load_b64 v[7:8], v11, s[4:5]
	global_load_b64 v[5:6], v11, s[4:5] offset:2048
	global_load_b64 v[3:4], v[1:2], off
	global_load_b64 v[1:2], v[1:2], off offset:2048
	s_cbranch_scc1 .LBB26_5
; %bb.1:
	v_cmp_ne_u32_e32 vcc_lo, 0, v0
	v_add_nc_u32_e32 v0, -8, v11
	s_set_inst_prefetch_distance 0x1
	s_branch .LBB26_3
	.p2align	6
.LBB26_2:                               ;   in Loop: Header=BB26_3 Depth=1
	s_or_b32 exec_lo, exec_lo, s1
	v_add_f64 v[12:13], v[5:6], -v[7:8]
	v_add_f64 v[14:15], v[3:4], -v[5:6]
	;; [unrolled: 1-line block ×3, first 2 shown]
	s_delay_alu instid0(VALU_DEP_4) | instskip(SKIP_1) | instid1(SALU_CYCLE_1)
	v_add_f64 v[7:8], v[7:8], v[9:10]
	s_add_i32 s0, s0, -1
	s_cmp_lg_u32 s0, 0
	s_barrier
	buffer_gl0_inv
	v_add_f64 v[5:6], v[5:6], v[12:13]
	v_add_f64 v[3:4], v[3:4], v[14:15]
	;; [unrolled: 1-line block ×3, first 2 shown]
	s_cbranch_scc0 .LBB26_5
.LBB26_3:                               ; =>This Inner Loop Header: Depth=1
	s_waitcnt vmcnt(3)
	v_dual_mov_b32 v10, v8 :: v_dual_mov_b32 v9, v7
	s_waitcnt vmcnt(0)
	ds_store_b64 v11, v[1:2]
	s_waitcnt lgkmcnt(0)
	s_barrier
	buffer_gl0_inv
	s_and_saveexec_b32 s1, vcc_lo
	s_cbranch_execz .LBB26_2
; %bb.4:                                ;   in Loop: Header=BB26_3 Depth=1
	ds_load_b64 v[9:10], v0
	s_waitcnt lgkmcnt(0)
	v_add_f64 v[9:10], v[7:8], -v[9:10]
	s_branch .LBB26_2
.LBB26_5:
	s_set_inst_prefetch_distance 0x2
	s_add_u32 s0, s6, s2
	s_addc_u32 s1, s7, s3
	v_add_co_u32 v0, s2, s0, v11
	s_delay_alu instid0(VALU_DEP_1) | instskip(NEXT) | instid1(VALU_DEP_2)
	v_add_co_ci_u32_e64 v10, null, s1, 0, s2
	v_add_co_u32 v9, vcc_lo, 0x1000, v0
	s_delay_alu instid0(VALU_DEP_2)
	v_add_co_ci_u32_e32 v10, vcc_lo, 0, v10, vcc_lo
	s_waitcnt vmcnt(3)
	global_store_b64 v11, v[7:8], s[0:1]
	s_waitcnt vmcnt(2)
	global_store_b64 v11, v[5:6], s[0:1] offset:2048
	s_waitcnt vmcnt(1)
	global_store_b64 v[9:10], v[3:4], off
	s_waitcnt vmcnt(0)
	global_store_b64 v[9:10], v[1:2], off offset:2048
	s_nop 0
	s_sendmsg sendmsg(MSG_DEALLOC_VGPRS)
	s_endpgm
	.section	.rodata,"a",@progbits
	.p2align	6, 0x0
	.amdhsa_kernel _Z6kernelI13subtract_leftLj256ELj4ELb0EJPdS1_jEEvDpT3_
		.amdhsa_group_segment_fixed_size 4096
		.amdhsa_private_segment_fixed_size 0
		.amdhsa_kernarg_size 20
		.amdhsa_user_sgpr_count 15
		.amdhsa_user_sgpr_dispatch_ptr 0
		.amdhsa_user_sgpr_queue_ptr 0
		.amdhsa_user_sgpr_kernarg_segment_ptr 1
		.amdhsa_user_sgpr_dispatch_id 0
		.amdhsa_user_sgpr_private_segment_size 0
		.amdhsa_wavefront_size32 1
		.amdhsa_uses_dynamic_stack 0
		.amdhsa_enable_private_segment 0
		.amdhsa_system_sgpr_workgroup_id_x 1
		.amdhsa_system_sgpr_workgroup_id_y 0
		.amdhsa_system_sgpr_workgroup_id_z 0
		.amdhsa_system_sgpr_workgroup_info 0
		.amdhsa_system_vgpr_workitem_id 0
		.amdhsa_next_free_vgpr 18
		.amdhsa_next_free_sgpr 16
		.amdhsa_reserve_vcc 1
		.amdhsa_float_round_mode_32 0
		.amdhsa_float_round_mode_16_64 0
		.amdhsa_float_denorm_mode_32 3
		.amdhsa_float_denorm_mode_16_64 3
		.amdhsa_dx10_clamp 1
		.amdhsa_ieee_mode 1
		.amdhsa_fp16_overflow 0
		.amdhsa_workgroup_processor_mode 1
		.amdhsa_memory_ordered 1
		.amdhsa_forward_progress 0
		.amdhsa_shared_vgpr_count 0
		.amdhsa_exception_fp_ieee_invalid_op 0
		.amdhsa_exception_fp_denorm_src 0
		.amdhsa_exception_fp_ieee_div_zero 0
		.amdhsa_exception_fp_ieee_overflow 0
		.amdhsa_exception_fp_ieee_underflow 0
		.amdhsa_exception_fp_ieee_inexact 0
		.amdhsa_exception_int_div_zero 0
	.end_amdhsa_kernel
	.section	.text._Z6kernelI13subtract_leftLj256ELj4ELb0EJPdS1_jEEvDpT3_,"axG",@progbits,_Z6kernelI13subtract_leftLj256ELj4ELb0EJPdS1_jEEvDpT3_,comdat
.Lfunc_end26:
	.size	_Z6kernelI13subtract_leftLj256ELj4ELb0EJPdS1_jEEvDpT3_, .Lfunc_end26-_Z6kernelI13subtract_leftLj256ELj4ELb0EJPdS1_jEEvDpT3_
                                        ; -- End function
	.section	.AMDGPU.csdata,"",@progbits
; Kernel info:
; codeLenInByte = 416
; NumSgprs: 18
; NumVgprs: 18
; ScratchSize: 0
; MemoryBound: 0
; FloatMode: 240
; IeeeMode: 1
; LDSByteSize: 4096 bytes/workgroup (compile time only)
; SGPRBlocks: 2
; VGPRBlocks: 2
; NumSGPRsForWavesPerEU: 18
; NumVGPRsForWavesPerEU: 18
; Occupancy: 16
; WaveLimiterHint : 1
; COMPUTE_PGM_RSRC2:SCRATCH_EN: 0
; COMPUTE_PGM_RSRC2:USER_SGPR: 15
; COMPUTE_PGM_RSRC2:TRAP_HANDLER: 0
; COMPUTE_PGM_RSRC2:TGID_X_EN: 1
; COMPUTE_PGM_RSRC2:TGID_Y_EN: 0
; COMPUTE_PGM_RSRC2:TGID_Z_EN: 0
; COMPUTE_PGM_RSRC2:TIDIG_COMP_CNT: 0
	.section	.text._Z6kernelI13subtract_leftLj256ELj8ELb0EJPdS1_jEEvDpT3_,"axG",@progbits,_Z6kernelI13subtract_leftLj256ELj8ELb0EJPdS1_jEEvDpT3_,comdat
	.protected	_Z6kernelI13subtract_leftLj256ELj8ELb0EJPdS1_jEEvDpT3_ ; -- Begin function _Z6kernelI13subtract_leftLj256ELj8ELb0EJPdS1_jEEvDpT3_
	.globl	_Z6kernelI13subtract_leftLj256ELj8ELb0EJPdS1_jEEvDpT3_
	.p2align	8
	.type	_Z6kernelI13subtract_leftLj256ELj8ELb0EJPdS1_jEEvDpT3_,@function
_Z6kernelI13subtract_leftLj256ELj8ELb0EJPdS1_jEEvDpT3_: ; @_Z6kernelI13subtract_leftLj256ELj8ELb0EJPdS1_jEEvDpT3_
; %bb.0:
	s_load_b128 s[4:7], s[0:1], 0x0
	s_mov_b32 s3, 0
	s_lshl_b32 s2, s15, 11
	v_lshlrev_b32_e32 v19, 3, v0
	s_lshl_b64 s[2:3], s[2:3], 3
	s_load_b32 s0, s[0:1], 0x10
	s_waitcnt lgkmcnt(0)
	s_add_u32 s4, s4, s2
	s_addc_u32 s5, s5, s3
	v_add_co_u32 v5, s1, s4, v19
	s_delay_alu instid0(VALU_DEP_1) | instskip(SKIP_1) | instid1(VALU_DEP_2)
	v_add_co_ci_u32_e64 v6, null, s5, 0, s1
	s_cmp_eq_u32 s0, 0
	v_add_co_u32 v1, vcc_lo, 0x1000, v5
	s_delay_alu instid0(VALU_DEP_2)
	v_add_co_ci_u32_e32 v2, vcc_lo, 0, v6, vcc_lo
	v_add_co_u32 v9, vcc_lo, v5, 0x2000
	v_add_co_ci_u32_e32 v10, vcc_lo, 0, v6, vcc_lo
	v_add_co_u32 v3, vcc_lo, 0x2000, v5
	v_add_co_ci_u32_e32 v4, vcc_lo, 0, v6, vcc_lo
	v_add_co_u32 v17, vcc_lo, 0x3000, v5
	v_add_co_ci_u32_e32 v18, vcc_lo, 0, v6, vcc_lo
	s_clause 0x7
	global_load_b64 v[15:16], v[9:10], off
	global_load_b64 v[13:14], v19, s[4:5]
	global_load_b64 v[11:12], v19, s[4:5] offset:2048
	global_load_b64 v[7:8], v[1:2], off offset:2048
	global_load_b64 v[5:6], v[3:4], off offset:2048
	global_load_b64 v[3:4], v[17:18], off
	global_load_b64 v[9:10], v[9:10], off offset:-4096
	global_load_b64 v[1:2], v[17:18], off offset:2048
	s_cbranch_scc1 .LBB27_5
; %bb.1:
	v_cmp_ne_u32_e32 vcc_lo, 0, v0
	v_add_nc_u32_e32 v0, -8, v19
	s_set_inst_prefetch_distance 0x1
	s_branch .LBB27_3
	.p2align	6
.LBB27_2:                               ;   in Loop: Header=BB27_3 Depth=1
	s_or_b32 exec_lo, exec_lo, s1
	v_add_f64 v[20:21], v[11:12], -v[13:14]
	v_add_f64 v[22:23], v[9:10], -v[11:12]
	;; [unrolled: 1-line block ×7, first 2 shown]
	v_add_f64 v[13:14], v[13:14], v[17:18]
	s_add_i32 s0, s0, -1
	s_delay_alu instid0(SALU_CYCLE_1)
	s_cmp_lg_u32 s0, 0
	s_barrier
	buffer_gl0_inv
	v_add_f64 v[11:12], v[11:12], v[20:21]
	v_add_f64 v[9:10], v[9:10], v[22:23]
	;; [unrolled: 1-line block ×7, first 2 shown]
	s_cbranch_scc0 .LBB27_5
.LBB27_3:                               ; =>This Inner Loop Header: Depth=1
	s_waitcnt vmcnt(6)
	v_dual_mov_b32 v18, v14 :: v_dual_mov_b32 v17, v13
	s_waitcnt vmcnt(0)
	ds_store_b64 v19, v[1:2]
	s_waitcnt lgkmcnt(0)
	s_barrier
	buffer_gl0_inv
	s_and_saveexec_b32 s1, vcc_lo
	s_cbranch_execz .LBB27_2
; %bb.4:                                ;   in Loop: Header=BB27_3 Depth=1
	ds_load_b64 v[17:18], v0
	s_waitcnt lgkmcnt(0)
	v_add_f64 v[17:18], v[13:14], -v[17:18]
	s_branch .LBB27_2
.LBB27_5:
	s_set_inst_prefetch_distance 0x2
	s_add_u32 s0, s6, s2
	s_addc_u32 s1, s7, s3
	v_add_co_u32 v0, s2, s0, v19
	s_delay_alu instid0(VALU_DEP_1) | instskip(NEXT) | instid1(VALU_DEP_2)
	v_add_co_ci_u32_e64 v24, null, s1, 0, s2
	v_add_co_u32 v17, vcc_lo, 0x1000, v0
	s_delay_alu instid0(VALU_DEP_2)
	v_add_co_ci_u32_e32 v18, vcc_lo, 0, v24, vcc_lo
	v_add_co_u32 v20, vcc_lo, v0, 0x2000
	v_add_co_ci_u32_e32 v21, vcc_lo, 0, v24, vcc_lo
	v_add_co_u32 v22, vcc_lo, 0x2000, v0
	v_add_co_ci_u32_e32 v23, vcc_lo, 0, v24, vcc_lo
	s_waitcnt vmcnt(7)
	global_store_b64 v[20:21], v[15:16], off
	v_add_co_u32 v15, vcc_lo, 0x3000, v0
	v_add_co_ci_u32_e32 v16, vcc_lo, 0, v24, vcc_lo
	s_waitcnt vmcnt(6)
	global_store_b64 v19, v[13:14], s[0:1]
	s_waitcnt vmcnt(5)
	global_store_b64 v19, v[11:12], s[0:1] offset:2048
	s_waitcnt vmcnt(4)
	global_store_b64 v[17:18], v[7:8], off offset:2048
	s_waitcnt vmcnt(3)
	global_store_b64 v[22:23], v[5:6], off offset:2048
	s_waitcnt vmcnt(2)
	global_store_b64 v[15:16], v[3:4], off
	s_waitcnt vmcnt(1)
	global_store_b64 v[20:21], v[9:10], off offset:-4096
	s_waitcnt vmcnt(0)
	global_store_b64 v[15:16], v[1:2], off offset:2048
	s_nop 0
	s_sendmsg sendmsg(MSG_DEALLOC_VGPRS)
	s_endpgm
	.section	.rodata,"a",@progbits
	.p2align	6, 0x0
	.amdhsa_kernel _Z6kernelI13subtract_leftLj256ELj8ELb0EJPdS1_jEEvDpT3_
		.amdhsa_group_segment_fixed_size 4096
		.amdhsa_private_segment_fixed_size 0
		.amdhsa_kernarg_size 20
		.amdhsa_user_sgpr_count 15
		.amdhsa_user_sgpr_dispatch_ptr 0
		.amdhsa_user_sgpr_queue_ptr 0
		.amdhsa_user_sgpr_kernarg_segment_ptr 1
		.amdhsa_user_sgpr_dispatch_id 0
		.amdhsa_user_sgpr_private_segment_size 0
		.amdhsa_wavefront_size32 1
		.amdhsa_uses_dynamic_stack 0
		.amdhsa_enable_private_segment 0
		.amdhsa_system_sgpr_workgroup_id_x 1
		.amdhsa_system_sgpr_workgroup_id_y 0
		.amdhsa_system_sgpr_workgroup_id_z 0
		.amdhsa_system_sgpr_workgroup_info 0
		.amdhsa_system_vgpr_workitem_id 0
		.amdhsa_next_free_vgpr 34
		.amdhsa_next_free_sgpr 16
		.amdhsa_reserve_vcc 1
		.amdhsa_float_round_mode_32 0
		.amdhsa_float_round_mode_16_64 0
		.amdhsa_float_denorm_mode_32 3
		.amdhsa_float_denorm_mode_16_64 3
		.amdhsa_dx10_clamp 1
		.amdhsa_ieee_mode 1
		.amdhsa_fp16_overflow 0
		.amdhsa_workgroup_processor_mode 1
		.amdhsa_memory_ordered 1
		.amdhsa_forward_progress 0
		.amdhsa_shared_vgpr_count 0
		.amdhsa_exception_fp_ieee_invalid_op 0
		.amdhsa_exception_fp_denorm_src 0
		.amdhsa_exception_fp_ieee_div_zero 0
		.amdhsa_exception_fp_ieee_overflow 0
		.amdhsa_exception_fp_ieee_underflow 0
		.amdhsa_exception_fp_ieee_inexact 0
		.amdhsa_exception_int_div_zero 0
	.end_amdhsa_kernel
	.section	.text._Z6kernelI13subtract_leftLj256ELj8ELb0EJPdS1_jEEvDpT3_,"axG",@progbits,_Z6kernelI13subtract_leftLj256ELj8ELb0EJPdS1_jEEvDpT3_,comdat
.Lfunc_end27:
	.size	_Z6kernelI13subtract_leftLj256ELj8ELb0EJPdS1_jEEvDpT3_, .Lfunc_end27-_Z6kernelI13subtract_leftLj256ELj8ELb0EJPdS1_jEEvDpT3_
                                        ; -- End function
	.section	.AMDGPU.csdata,"",@progbits
; Kernel info:
; codeLenInByte = 656
; NumSgprs: 18
; NumVgprs: 34
; ScratchSize: 0
; MemoryBound: 0
; FloatMode: 240
; IeeeMode: 1
; LDSByteSize: 4096 bytes/workgroup (compile time only)
; SGPRBlocks: 2
; VGPRBlocks: 4
; NumSGPRsForWavesPerEU: 18
; NumVGPRsForWavesPerEU: 34
; Occupancy: 16
; WaveLimiterHint : 1
; COMPUTE_PGM_RSRC2:SCRATCH_EN: 0
; COMPUTE_PGM_RSRC2:USER_SGPR: 15
; COMPUTE_PGM_RSRC2:TRAP_HANDLER: 0
; COMPUTE_PGM_RSRC2:TGID_X_EN: 1
; COMPUTE_PGM_RSRC2:TGID_Y_EN: 0
; COMPUTE_PGM_RSRC2:TGID_Z_EN: 0
; COMPUTE_PGM_RSRC2:TIDIG_COMP_CNT: 0
	.section	.text._Z6kernelI13subtract_leftLj256ELj16ELb0EJPdS1_jEEvDpT3_,"axG",@progbits,_Z6kernelI13subtract_leftLj256ELj16ELb0EJPdS1_jEEvDpT3_,comdat
	.protected	_Z6kernelI13subtract_leftLj256ELj16ELb0EJPdS1_jEEvDpT3_ ; -- Begin function _Z6kernelI13subtract_leftLj256ELj16ELb0EJPdS1_jEEvDpT3_
	.globl	_Z6kernelI13subtract_leftLj256ELj16ELb0EJPdS1_jEEvDpT3_
	.p2align	8
	.type	_Z6kernelI13subtract_leftLj256ELj16ELb0EJPdS1_jEEvDpT3_,@function
_Z6kernelI13subtract_leftLj256ELj16ELb0EJPdS1_jEEvDpT3_: ; @_Z6kernelI13subtract_leftLj256ELj16ELb0EJPdS1_jEEvDpT3_
; %bb.0:
	s_load_b128 s[4:7], s[0:1], 0x0
	s_mov_b32 s3, 0
	s_lshl_b32 s2, s15, 12
	v_lshlrev_b32_e32 v35, 3, v0
	s_lshl_b64 s[2:3], s[2:3], 3
	s_load_b32 s0, s[0:1], 0x10
	s_waitcnt lgkmcnt(0)
	s_add_u32 s4, s4, s2
	s_addc_u32 s5, s5, s3
	v_add_co_u32 v13, s1, s4, v35
	s_delay_alu instid0(VALU_DEP_1) | instskip(SKIP_1) | instid1(VALU_DEP_2)
	v_add_co_ci_u32_e64 v14, null, s5, 0, s1
	s_cmp_eq_u32 s0, 0
	v_add_co_u32 v1, vcc_lo, 0x1000, v13
	s_delay_alu instid0(VALU_DEP_2)
	v_add_co_ci_u32_e32 v2, vcc_lo, 0, v14, vcc_lo
	v_add_co_u32 v21, vcc_lo, v13, 0x2000
	v_add_co_ci_u32_e32 v22, vcc_lo, 0, v14, vcc_lo
	v_add_co_u32 v3, vcc_lo, 0x2000, v13
	;; [unrolled: 2-line block ×3, first 2 shown]
	v_add_co_ci_u32_e32 v6, vcc_lo, 0, v14, vcc_lo
	s_clause 0x4
	global_load_b64 v[25:26], v[21:22], off
	global_load_b64 v[31:32], v35, s[4:5]
	global_load_b64 v[29:30], v35, s[4:5] offset:2048
	global_load_b64 v[27:28], v[1:2], off offset:2048
	global_load_b64 v[23:24], v[3:4], off offset:2048
	v_add_co_u32 v1, vcc_lo, v13, 0x4000
	v_add_co_ci_u32_e32 v2, vcc_lo, 0, v14, vcc_lo
	v_add_co_u32 v3, vcc_lo, 0x4000, v13
	v_add_co_ci_u32_e32 v4, vcc_lo, 0, v14, vcc_lo
	;; [unrolled: 2-line block ×5, first 2 shown]
	s_clause 0x3
	global_load_b64 v[19:20], v[1:2], off offset:-4096
	global_load_b64 v[15:16], v[1:2], off
	global_load_b64 v[11:12], v[7:8], off offset:-4096
	global_load_b64 v[7:8], v[7:8], off
	v_add_co_u32 v1, vcc_lo, 0x7000, v13
	v_add_co_ci_u32_e32 v2, vcc_lo, 0, v14, vcc_lo
	s_clause 0x6
	global_load_b64 v[17:18], v[5:6], off offset:2048
	global_load_b64 v[13:14], v[3:4], off offset:2048
	global_load_b64 v[9:10], v[9:10], off offset:2048
	global_load_b64 v[5:6], v[33:34], off offset:2048
	global_load_b64 v[3:4], v[1:2], off
	global_load_b64 v[21:22], v[21:22], off offset:-4096
	global_load_b64 v[1:2], v[1:2], off offset:2048
	s_cbranch_scc1 .LBB28_5
; %bb.1:
	v_cmp_ne_u32_e32 vcc_lo, 0, v0
	v_add_nc_u32_e32 v0, -8, v35
	s_branch .LBB28_3
.LBB28_2:                               ;   in Loop: Header=BB28_3 Depth=1
	s_or_b32 exec_lo, exec_lo, s1
	v_add_f64 v[36:37], v[29:30], -v[31:32]
	v_add_f64 v[38:39], v[21:22], -v[29:30]
	;; [unrolled: 1-line block ×15, first 2 shown]
	v_add_f64 v[31:32], v[31:32], v[33:34]
	s_add_i32 s0, s0, -1
	s_delay_alu instid0(SALU_CYCLE_1)
	s_cmp_lg_u32 s0, 0
	s_barrier
	buffer_gl0_inv
	v_add_f64 v[29:30], v[29:30], v[36:37]
	v_add_f64 v[21:22], v[21:22], v[38:39]
	;; [unrolled: 1-line block ×15, first 2 shown]
	s_cbranch_scc0 .LBB28_5
.LBB28_3:                               ; =>This Inner Loop Header: Depth=1
	s_waitcnt vmcnt(14)
	v_dual_mov_b32 v34, v32 :: v_dual_mov_b32 v33, v31
	s_waitcnt vmcnt(0)
	ds_store_b64 v35, v[1:2]
	s_waitcnt lgkmcnt(0)
	s_barrier
	buffer_gl0_inv
	s_and_saveexec_b32 s1, vcc_lo
	s_cbranch_execz .LBB28_2
; %bb.4:                                ;   in Loop: Header=BB28_3 Depth=1
	ds_load_b64 v[33:34], v0
	s_waitcnt lgkmcnt(0)
	v_add_f64 v[33:34], v[31:32], -v[33:34]
	s_branch .LBB28_2
.LBB28_5:
	s_add_u32 s0, s6, s2
	s_addc_u32 s1, s7, s3
	v_add_co_u32 v0, s2, s0, v35
	s_delay_alu instid0(VALU_DEP_1) | instskip(NEXT) | instid1(VALU_DEP_2)
	v_add_co_ci_u32_e64 v40, null, s1, 0, s2
	v_add_co_u32 v33, vcc_lo, 0x1000, v0
	s_delay_alu instid0(VALU_DEP_2)
	v_add_co_ci_u32_e32 v34, vcc_lo, 0, v40, vcc_lo
	v_add_co_u32 v36, vcc_lo, v0, 0x2000
	v_add_co_ci_u32_e32 v37, vcc_lo, 0, v40, vcc_lo
	v_add_co_u32 v38, vcc_lo, 0x2000, v0
	v_add_co_ci_u32_e32 v39, vcc_lo, 0, v40, vcc_lo
	s_waitcnt vmcnt(15)
	global_store_b64 v[36:37], v[25:26], off
	s_waitcnt vmcnt(14)
	global_store_b64 v35, v[31:32], s[0:1]
	s_waitcnt vmcnt(13)
	global_store_b64 v35, v[29:30], s[0:1] offset:2048
	s_waitcnt vmcnt(12)
	global_store_b64 v[33:34], v[27:28], off offset:2048
	s_waitcnt vmcnt(11)
	global_store_b64 v[38:39], v[23:24], off offset:2048
	v_add_co_u32 v23, vcc_lo, 0x3000, v0
	v_add_co_ci_u32_e32 v24, vcc_lo, 0, v40, vcc_lo
	v_add_co_u32 v25, vcc_lo, v0, 0x4000
	v_add_co_ci_u32_e32 v26, vcc_lo, 0, v40, vcc_lo
	;; [unrolled: 2-line block ×6, first 2 shown]
	s_waitcnt vmcnt(10)
	global_store_b64 v[25:26], v[19:20], off offset:-4096
	s_waitcnt vmcnt(9)
	global_store_b64 v[25:26], v[15:16], off
	s_waitcnt vmcnt(8)
	global_store_b64 v[31:32], v[11:12], off offset:-4096
	s_waitcnt vmcnt(7)
	global_store_b64 v[31:32], v[7:8], off
	v_add_co_u32 v7, vcc_lo, 0x7000, v0
	v_add_co_ci_u32_e32 v8, vcc_lo, 0, v40, vcc_lo
	s_waitcnt vmcnt(6)
	global_store_b64 v[23:24], v[17:18], off offset:2048
	s_waitcnt vmcnt(5)
	global_store_b64 v[27:28], v[13:14], off offset:2048
	;; [unrolled: 2-line block ×4, first 2 shown]
	s_waitcnt vmcnt(2)
	global_store_b64 v[7:8], v[3:4], off
	s_waitcnt vmcnt(1)
	global_store_b64 v[36:37], v[21:22], off offset:-4096
	s_waitcnt vmcnt(0)
	global_store_b64 v[7:8], v[1:2], off offset:2048
	s_nop 0
	s_sendmsg sendmsg(MSG_DEALLOC_VGPRS)
	s_endpgm
	.section	.rodata,"a",@progbits
	.p2align	6, 0x0
	.amdhsa_kernel _Z6kernelI13subtract_leftLj256ELj16ELb0EJPdS1_jEEvDpT3_
		.amdhsa_group_segment_fixed_size 4096
		.amdhsa_private_segment_fixed_size 0
		.amdhsa_kernarg_size 20
		.amdhsa_user_sgpr_count 15
		.amdhsa_user_sgpr_dispatch_ptr 0
		.amdhsa_user_sgpr_queue_ptr 0
		.amdhsa_user_sgpr_kernarg_segment_ptr 1
		.amdhsa_user_sgpr_dispatch_id 0
		.amdhsa_user_sgpr_private_segment_size 0
		.amdhsa_wavefront_size32 1
		.amdhsa_uses_dynamic_stack 0
		.amdhsa_enable_private_segment 0
		.amdhsa_system_sgpr_workgroup_id_x 1
		.amdhsa_system_sgpr_workgroup_id_y 0
		.amdhsa_system_sgpr_workgroup_id_z 0
		.amdhsa_system_sgpr_workgroup_info 0
		.amdhsa_system_vgpr_workitem_id 0
		.amdhsa_next_free_vgpr 66
		.amdhsa_next_free_sgpr 16
		.amdhsa_reserve_vcc 1
		.amdhsa_float_round_mode_32 0
		.amdhsa_float_round_mode_16_64 0
		.amdhsa_float_denorm_mode_32 3
		.amdhsa_float_denorm_mode_16_64 3
		.amdhsa_dx10_clamp 1
		.amdhsa_ieee_mode 1
		.amdhsa_fp16_overflow 0
		.amdhsa_workgroup_processor_mode 1
		.amdhsa_memory_ordered 1
		.amdhsa_forward_progress 0
		.amdhsa_shared_vgpr_count 0
		.amdhsa_exception_fp_ieee_invalid_op 0
		.amdhsa_exception_fp_denorm_src 0
		.amdhsa_exception_fp_ieee_div_zero 0
		.amdhsa_exception_fp_ieee_overflow 0
		.amdhsa_exception_fp_ieee_underflow 0
		.amdhsa_exception_fp_ieee_inexact 0
		.amdhsa_exception_int_div_zero 0
	.end_amdhsa_kernel
	.section	.text._Z6kernelI13subtract_leftLj256ELj16ELb0EJPdS1_jEEvDpT3_,"axG",@progbits,_Z6kernelI13subtract_leftLj256ELj16ELb0EJPdS1_jEEvDpT3_,comdat
.Lfunc_end28:
	.size	_Z6kernelI13subtract_leftLj256ELj16ELb0EJPdS1_jEEvDpT3_, .Lfunc_end28-_Z6kernelI13subtract_leftLj256ELj16ELb0EJPdS1_jEEvDpT3_
                                        ; -- End function
	.section	.AMDGPU.csdata,"",@progbits
; Kernel info:
; codeLenInByte = 1136
; NumSgprs: 18
; NumVgprs: 66
; ScratchSize: 0
; MemoryBound: 0
; FloatMode: 240
; IeeeMode: 1
; LDSByteSize: 4096 bytes/workgroup (compile time only)
; SGPRBlocks: 2
; VGPRBlocks: 8
; NumSGPRsForWavesPerEU: 18
; NumVGPRsForWavesPerEU: 66
; Occupancy: 16
; WaveLimiterHint : 1
; COMPUTE_PGM_RSRC2:SCRATCH_EN: 0
; COMPUTE_PGM_RSRC2:USER_SGPR: 15
; COMPUTE_PGM_RSRC2:TRAP_HANDLER: 0
; COMPUTE_PGM_RSRC2:TGID_X_EN: 1
; COMPUTE_PGM_RSRC2:TGID_Y_EN: 0
; COMPUTE_PGM_RSRC2:TGID_Z_EN: 0
; COMPUTE_PGM_RSRC2:TIDIG_COMP_CNT: 0
	.section	.text._Z6kernelI13subtract_leftLj256ELj32ELb0EJPdS1_jEEvDpT3_,"axG",@progbits,_Z6kernelI13subtract_leftLj256ELj32ELb0EJPdS1_jEEvDpT3_,comdat
	.protected	_Z6kernelI13subtract_leftLj256ELj32ELb0EJPdS1_jEEvDpT3_ ; -- Begin function _Z6kernelI13subtract_leftLj256ELj32ELb0EJPdS1_jEEvDpT3_
	.globl	_Z6kernelI13subtract_leftLj256ELj32ELb0EJPdS1_jEEvDpT3_
	.p2align	8
	.type	_Z6kernelI13subtract_leftLj256ELj32ELb0EJPdS1_jEEvDpT3_,@function
_Z6kernelI13subtract_leftLj256ELj32ELb0EJPdS1_jEEvDpT3_: ; @_Z6kernelI13subtract_leftLj256ELj32ELb0EJPdS1_jEEvDpT3_
; %bb.0:
	s_load_b128 s[4:7], s[0:1], 0x0
	s_mov_b32 s3, 0
	s_lshl_b32 s2, s15, 13
	v_lshlrev_b32_e32 v67, 3, v0
	s_lshl_b64 s[2:3], s[2:3], 3
	s_load_b32 s0, s[0:1], 0x10
	s_waitcnt lgkmcnt(0)
	s_add_u32 s4, s4, s2
	s_addc_u32 s5, s5, s3
	v_add_co_u32 v13, s1, s4, v67
	s_delay_alu instid0(VALU_DEP_1) | instskip(SKIP_1) | instid1(VALU_DEP_2)
	v_add_co_ci_u32_e64 v14, null, s5, 0, s1
	s_cmp_eq_u32 s0, 0
	v_add_co_u32 v1, vcc_lo, 0x1000, v13
	s_delay_alu instid0(VALU_DEP_2)
	v_add_co_ci_u32_e32 v2, vcc_lo, 0, v14, vcc_lo
	v_add_co_u32 v53, vcc_lo, v13, 0x2000
	v_add_co_ci_u32_e32 v54, vcc_lo, 0, v14, vcc_lo
	v_add_co_u32 v3, vcc_lo, 0x2000, v13
	;; [unrolled: 2-line block ×3, first 2 shown]
	v_add_co_ci_u32_e32 v6, vcc_lo, 0, v14, vcc_lo
	s_clause 0x4
	global_load_b64 v[57:58], v[53:54], off
	global_load_b64 v[63:64], v67, s[4:5]
	global_load_b64 v[61:62], v67, s[4:5] offset:2048
	global_load_b64 v[59:60], v[1:2], off offset:2048
	global_load_b64 v[55:56], v[3:4], off offset:2048
	v_add_co_u32 v1, vcc_lo, v13, 0x4000
	v_add_co_ci_u32_e32 v2, vcc_lo, 0, v14, vcc_lo
	v_add_co_u32 v3, vcc_lo, 0x4000, v13
	v_add_co_ci_u32_e32 v4, vcc_lo, 0, v14, vcc_lo
	;; [unrolled: 2-line block ×5, first 2 shown]
	s_clause 0x7
	global_load_b64 v[51:52], v[1:2], off offset:-4096
	global_load_b64 v[47:48], v[1:2], off
	global_load_b64 v[43:44], v[9:10], off offset:-4096
	global_load_b64 v[39:40], v[9:10], off
	global_load_b64 v[49:50], v[5:6], off offset:2048
	global_load_b64 v[45:46], v[3:4], off offset:2048
	global_load_b64 v[41:42], v[7:8], off offset:2048
	global_load_b64 v[37:38], v[11:12], off offset:2048
	v_add_co_u32 v1, vcc_lo, 0x7000, v13
	v_add_co_ci_u32_e32 v2, vcc_lo, 0, v14, vcc_lo
	v_add_co_u32 v3, vcc_lo, v13, 0x8000
	v_add_co_ci_u32_e32 v4, vcc_lo, 0, v14, vcc_lo
	;; [unrolled: 2-line block ×6, first 2 shown]
	s_clause 0x7
	global_load_b64 v[35:36], v[3:4], off offset:-4096
	global_load_b64 v[31:32], v[3:4], off
	global_load_b64 v[27:28], v[9:10], off offset:-4096
	global_load_b64 v[23:24], v[9:10], off
	global_load_b64 v[33:34], v[1:2], off offset:2048
	global_load_b64 v[29:30], v[5:6], off offset:2048
	;; [unrolled: 1-line block ×4, first 2 shown]
	v_add_co_u32 v1, vcc_lo, 0xb000, v13
	v_add_co_ci_u32_e32 v2, vcc_lo, 0, v14, vcc_lo
	v_add_co_u32 v3, vcc_lo, v13, 0xc000
	v_add_co_ci_u32_e32 v4, vcc_lo, 0, v14, vcc_lo
	v_add_co_u32 v5, vcc_lo, 0xc000, v13
	v_add_co_ci_u32_e32 v6, vcc_lo, 0, v14, vcc_lo
	v_add_co_u32 v9, vcc_lo, 0xd000, v13
	v_add_co_ci_u32_e32 v10, vcc_lo, 0, v14, vcc_lo
	v_add_co_u32 v7, vcc_lo, v13, 0xe000
	v_add_co_ci_u32_e32 v8, vcc_lo, 0, v14, vcc_lo
	v_add_co_u32 v65, vcc_lo, 0xe000, v13
	v_add_co_ci_u32_e32 v66, vcc_lo, 0, v14, vcc_lo
	v_add_co_u32 v68, vcc_lo, 0xf000, v13
	v_add_co_ci_u32_e32 v69, vcc_lo, 0, v14, vcc_lo
	s_clause 0xa
	global_load_b64 v[19:20], v[3:4], off offset:-4096
	global_load_b64 v[15:16], v[3:4], off
	global_load_b64 v[11:12], v[7:8], off offset:-4096
	global_load_b64 v[7:8], v[7:8], off
	global_load_b64 v[17:18], v[1:2], off offset:2048
	global_load_b64 v[13:14], v[5:6], off offset:2048
	global_load_b64 v[9:10], v[9:10], off offset:2048
	global_load_b64 v[5:6], v[65:66], off offset:2048
	global_load_b64 v[3:4], v[68:69], off
	global_load_b64 v[53:54], v[53:54], off offset:-4096
	global_load_b64 v[1:2], v[68:69], off offset:2048
	s_cbranch_scc1 .LBB29_5
; %bb.1:
	v_cmp_ne_u32_e32 vcc_lo, 0, v0
	v_add_nc_u32_e32 v0, -8, v67
	s_branch .LBB29_3
.LBB29_2:                               ;   in Loop: Header=BB29_3 Depth=1
	s_or_b32 exec_lo, exec_lo, s1
	v_add_f64 v[68:69], v[61:62], -v[63:64]
	v_add_f64 v[70:71], v[53:54], -v[61:62]
	;; [unrolled: 1-line block ×13, first 2 shown]
	v_add_f64 v[63:64], v[63:64], v[65:66]
	v_add_f64 v[65:66], v[35:36], -v[37:38]
	s_add_i32 s0, s0, -1
	s_delay_alu instid0(SALU_CYCLE_1)
	s_cmp_lg_u32 s0, 0
	s_barrier
	buffer_gl0_inv
	v_add_f64 v[61:62], v[61:62], v[68:69]
	v_add_f64 v[68:69], v[33:34], -v[35:36]
	v_add_f64 v[53:54], v[53:54], v[70:71]
	v_add_f64 v[70:71], v[31:32], -v[33:34]
	;; [unrolled: 2-line block ×17, first 2 shown]
	v_add_f64 v[3:4], v[3:4], v[74:75]
	v_add_f64 v[7:8], v[7:8], v[76:77]
	;; [unrolled: 1-line block ×14, first 2 shown]
	s_cbranch_scc0 .LBB29_5
.LBB29_3:                               ; =>This Inner Loop Header: Depth=1
	s_waitcnt vmcnt(30)
	v_dual_mov_b32 v66, v64 :: v_dual_mov_b32 v65, v63
	s_waitcnt vmcnt(0)
	ds_store_b64 v67, v[1:2]
	s_waitcnt lgkmcnt(0)
	s_barrier
	buffer_gl0_inv
	s_and_saveexec_b32 s1, vcc_lo
	s_cbranch_execz .LBB29_2
; %bb.4:                                ;   in Loop: Header=BB29_3 Depth=1
	ds_load_b64 v[65:66], v0
	s_waitcnt lgkmcnt(0)
	v_add_f64 v[65:66], v[63:64], -v[65:66]
	s_branch .LBB29_2
.LBB29_5:
	s_add_u32 s0, s6, s2
	s_addc_u32 s1, s7, s3
	v_add_co_u32 v0, s2, s0, v67
	s_delay_alu instid0(VALU_DEP_1) | instskip(NEXT) | instid1(VALU_DEP_2)
	v_add_co_ci_u32_e64 v72, null, s1, 0, s2
	v_add_co_u32 v65, vcc_lo, 0x1000, v0
	s_delay_alu instid0(VALU_DEP_2)
	v_add_co_ci_u32_e32 v66, vcc_lo, 0, v72, vcc_lo
	v_add_co_u32 v68, vcc_lo, v0, 0x2000
	v_add_co_ci_u32_e32 v69, vcc_lo, 0, v72, vcc_lo
	v_add_co_u32 v70, vcc_lo, 0x2000, v0
	v_add_co_ci_u32_e32 v71, vcc_lo, 0, v72, vcc_lo
	s_waitcnt vmcnt(31)
	global_store_b64 v[68:69], v[57:58], off
	s_waitcnt vmcnt(30)
	global_store_b64 v67, v[63:64], s[0:1]
	s_waitcnt vmcnt(29)
	global_store_b64 v67, v[61:62], s[0:1] offset:2048
	s_waitcnt vmcnt(28)
	global_store_b64 v[65:66], v[59:60], off offset:2048
	s_waitcnt vmcnt(27)
	global_store_b64 v[70:71], v[55:56], off offset:2048
	v_add_co_u32 v55, vcc_lo, 0x3000, v0
	v_add_co_ci_u32_e32 v56, vcc_lo, 0, v72, vcc_lo
	v_add_co_u32 v57, vcc_lo, v0, 0x4000
	v_add_co_ci_u32_e32 v58, vcc_lo, 0, v72, vcc_lo
	;; [unrolled: 2-line block ×6, first 2 shown]
	s_waitcnt vmcnt(26)
	global_store_b64 v[57:58], v[51:52], off offset:-4096
	s_waitcnt vmcnt(25)
	global_store_b64 v[57:58], v[47:48], off
	s_waitcnt vmcnt(24)
	global_store_b64 v[63:64], v[43:44], off offset:-4096
	s_waitcnt vmcnt(23)
	global_store_b64 v[63:64], v[39:40], off
	s_waitcnt vmcnt(22)
	global_store_b64 v[55:56], v[49:50], off offset:2048
	s_waitcnt vmcnt(21)
	global_store_b64 v[59:60], v[45:46], off offset:2048
	;; [unrolled: 2-line block ×4, first 2 shown]
	v_add_co_u32 v37, vcc_lo, 0x7000, v0
	v_add_co_ci_u32_e32 v38, vcc_lo, 0, v72, vcc_lo
	v_add_co_u32 v39, vcc_lo, v0, 0x8000
	v_add_co_ci_u32_e32 v40, vcc_lo, 0, v72, vcc_lo
	v_add_co_u32 v41, vcc_lo, 0x8000, v0
	v_add_co_ci_u32_e32 v42, vcc_lo, 0, v72, vcc_lo
	v_add_co_u32 v43, vcc_lo, 0x9000, v0
	v_add_co_ci_u32_e32 v44, vcc_lo, 0, v72, vcc_lo
	v_add_co_u32 v45, vcc_lo, v0, 0xa000
	v_add_co_ci_u32_e32 v46, vcc_lo, 0, v72, vcc_lo
	v_add_co_u32 v47, vcc_lo, 0xa000, v0
	v_add_co_ci_u32_e32 v48, vcc_lo, 0, v72, vcc_lo
	s_waitcnt vmcnt(18)
	global_store_b64 v[39:40], v[35:36], off offset:-4096
	s_waitcnt vmcnt(17)
	global_store_b64 v[39:40], v[31:32], off
	s_waitcnt vmcnt(16)
	global_store_b64 v[45:46], v[27:28], off offset:-4096
	s_waitcnt vmcnt(15)
	global_store_b64 v[45:46], v[23:24], off
	s_waitcnt vmcnt(14)
	global_store_b64 v[37:38], v[33:34], off offset:2048
	s_waitcnt vmcnt(13)
	global_store_b64 v[41:42], v[29:30], off offset:2048
	;; [unrolled: 2-line block ×4, first 2 shown]
	v_add_co_u32 v21, vcc_lo, 0xb000, v0
	v_add_co_ci_u32_e32 v22, vcc_lo, 0, v72, vcc_lo
	v_add_co_u32 v23, vcc_lo, v0, 0xc000
	v_add_co_ci_u32_e32 v24, vcc_lo, 0, v72, vcc_lo
	;; [unrolled: 2-line block ×6, first 2 shown]
	s_waitcnt vmcnt(10)
	global_store_b64 v[23:24], v[19:20], off offset:-4096
	s_waitcnt vmcnt(9)
	global_store_b64 v[23:24], v[15:16], off
	s_waitcnt vmcnt(8)
	global_store_b64 v[29:30], v[11:12], off offset:-4096
	s_waitcnt vmcnt(7)
	global_store_b64 v[29:30], v[7:8], off
	v_add_co_u32 v7, vcc_lo, 0xf000, v0
	v_add_co_ci_u32_e32 v8, vcc_lo, 0, v72, vcc_lo
	s_waitcnt vmcnt(6)
	global_store_b64 v[21:22], v[17:18], off offset:2048
	s_waitcnt vmcnt(5)
	global_store_b64 v[25:26], v[13:14], off offset:2048
	;; [unrolled: 2-line block ×4, first 2 shown]
	s_waitcnt vmcnt(2)
	global_store_b64 v[7:8], v[3:4], off
	s_waitcnt vmcnt(1)
	global_store_b64 v[68:69], v[53:54], off offset:-4096
	s_waitcnt vmcnt(0)
	global_store_b64 v[7:8], v[1:2], off offset:2048
	s_nop 0
	s_sendmsg sendmsg(MSG_DEALLOC_VGPRS)
	s_endpgm
	.section	.rodata,"a",@progbits
	.p2align	6, 0x0
	.amdhsa_kernel _Z6kernelI13subtract_leftLj256ELj32ELb0EJPdS1_jEEvDpT3_
		.amdhsa_group_segment_fixed_size 4096
		.amdhsa_private_segment_fixed_size 0
		.amdhsa_kernarg_size 20
		.amdhsa_user_sgpr_count 15
		.amdhsa_user_sgpr_dispatch_ptr 0
		.amdhsa_user_sgpr_queue_ptr 0
		.amdhsa_user_sgpr_kernarg_segment_ptr 1
		.amdhsa_user_sgpr_dispatch_id 0
		.amdhsa_user_sgpr_private_segment_size 0
		.amdhsa_wavefront_size32 1
		.amdhsa_uses_dynamic_stack 0
		.amdhsa_enable_private_segment 0
		.amdhsa_system_sgpr_workgroup_id_x 1
		.amdhsa_system_sgpr_workgroup_id_y 0
		.amdhsa_system_sgpr_workgroup_id_z 0
		.amdhsa_system_sgpr_workgroup_info 0
		.amdhsa_system_vgpr_workitem_id 0
		.amdhsa_next_free_vgpr 94
		.amdhsa_next_free_sgpr 16
		.amdhsa_reserve_vcc 1
		.amdhsa_float_round_mode_32 0
		.amdhsa_float_round_mode_16_64 0
		.amdhsa_float_denorm_mode_32 3
		.amdhsa_float_denorm_mode_16_64 3
		.amdhsa_dx10_clamp 1
		.amdhsa_ieee_mode 1
		.amdhsa_fp16_overflow 0
		.amdhsa_workgroup_processor_mode 1
		.amdhsa_memory_ordered 1
		.amdhsa_forward_progress 0
		.amdhsa_shared_vgpr_count 0
		.amdhsa_exception_fp_ieee_invalid_op 0
		.amdhsa_exception_fp_denorm_src 0
		.amdhsa_exception_fp_ieee_div_zero 0
		.amdhsa_exception_fp_ieee_overflow 0
		.amdhsa_exception_fp_ieee_underflow 0
		.amdhsa_exception_fp_ieee_inexact 0
		.amdhsa_exception_int_div_zero 0
	.end_amdhsa_kernel
	.section	.text._Z6kernelI13subtract_leftLj256ELj32ELb0EJPdS1_jEEvDpT3_,"axG",@progbits,_Z6kernelI13subtract_leftLj256ELj32ELb0EJPdS1_jEEvDpT3_,comdat
.Lfunc_end29:
	.size	_Z6kernelI13subtract_leftLj256ELj32ELb0EJPdS1_jEEvDpT3_, .Lfunc_end29-_Z6kernelI13subtract_leftLj256ELj32ELb0EJPdS1_jEEvDpT3_
                                        ; -- End function
	.section	.AMDGPU.csdata,"",@progbits
; Kernel info:
; codeLenInByte = 2100
; NumSgprs: 18
; NumVgprs: 94
; ScratchSize: 0
; MemoryBound: 0
; FloatMode: 240
; IeeeMode: 1
; LDSByteSize: 4096 bytes/workgroup (compile time only)
; SGPRBlocks: 2
; VGPRBlocks: 11
; NumSGPRsForWavesPerEU: 18
; NumVGPRsForWavesPerEU: 94
; Occupancy: 16
; WaveLimiterHint : 1
; COMPUTE_PGM_RSRC2:SCRATCH_EN: 0
; COMPUTE_PGM_RSRC2:USER_SGPR: 15
; COMPUTE_PGM_RSRC2:TRAP_HANDLER: 0
; COMPUTE_PGM_RSRC2:TGID_X_EN: 1
; COMPUTE_PGM_RSRC2:TGID_Y_EN: 0
; COMPUTE_PGM_RSRC2:TGID_Z_EN: 0
; COMPUTE_PGM_RSRC2:TIDIG_COMP_CNT: 0
	.section	.text._Z6kernelI13subtract_leftLj256ELj1ELb1EJPiS1_jEEvDpT3_,"axG",@progbits,_Z6kernelI13subtract_leftLj256ELj1ELb1EJPiS1_jEEvDpT3_,comdat
	.protected	_Z6kernelI13subtract_leftLj256ELj1ELb1EJPiS1_jEEvDpT3_ ; -- Begin function _Z6kernelI13subtract_leftLj256ELj1ELb1EJPiS1_jEEvDpT3_
	.globl	_Z6kernelI13subtract_leftLj256ELj1ELb1EJPiS1_jEEvDpT3_
	.p2align	8
	.type	_Z6kernelI13subtract_leftLj256ELj1ELb1EJPiS1_jEEvDpT3_,@function
_Z6kernelI13subtract_leftLj256ELj1ELb1EJPiS1_jEEvDpT3_: ; @_Z6kernelI13subtract_leftLj256ELj1ELb1EJPiS1_jEEvDpT3_
; %bb.0:
	s_load_b128 s[4:7], s[0:1], 0x0
	s_lshl_b32 s2, s15, 8
	s_mov_b32 s3, 0
	v_lshlrev_b32_e32 v1, 2, v0
	s_lshl_b64 s[2:3], s[2:3], 2
	s_load_b32 s0, s[0:1], 0x10
	s_waitcnt lgkmcnt(0)
	s_add_u32 s4, s4, s2
	s_addc_u32 s5, s5, s3
	global_load_b32 v2, v1, s[4:5]
	s_cmp_eq_u32 s0, 0
	s_cbranch_scc1 .LBB30_5
; %bb.1:
	v_cmp_ne_u32_e32 vcc_lo, 0, v0
	v_add_nc_u32_e32 v0, -4, v1
	s_branch .LBB30_3
	.p2align	6
.LBB30_2:                               ;   in Loop: Header=BB30_3 Depth=1
	s_or_b32 exec_lo, exec_lo, s1
	v_lshlrev_b32_e32 v2, 1, v2
	s_add_i32 s0, s0, -1
	s_waitcnt lgkmcnt(0)
	s_cmp_lg_u32 s0, 0
	s_barrier
	v_sub_nc_u32_e32 v2, v2, v3
	buffer_gl0_inv
	s_cbranch_scc0 .LBB30_5
.LBB30_3:                               ; =>This Inner Loop Header: Depth=1
	v_mov_b32_e32 v3, 0x7b
	s_waitcnt vmcnt(0)
	ds_store_b32 v1, v2
	s_waitcnt lgkmcnt(0)
	s_barrier
	buffer_gl0_inv
	s_and_saveexec_b32 s1, vcc_lo
	s_cbranch_execz .LBB30_2
; %bb.4:                                ;   in Loop: Header=BB30_3 Depth=1
	ds_load_b32 v3, v0
	s_branch .LBB30_2
.LBB30_5:
	s_add_u32 s0, s6, s2
	s_addc_u32 s1, s7, s3
	s_waitcnt vmcnt(0)
	global_store_b32 v1, v2, s[0:1]
	s_nop 0
	s_sendmsg sendmsg(MSG_DEALLOC_VGPRS)
	s_endpgm
	.section	.rodata,"a",@progbits
	.p2align	6, 0x0
	.amdhsa_kernel _Z6kernelI13subtract_leftLj256ELj1ELb1EJPiS1_jEEvDpT3_
		.amdhsa_group_segment_fixed_size 2048
		.amdhsa_private_segment_fixed_size 0
		.amdhsa_kernarg_size 20
		.amdhsa_user_sgpr_count 15
		.amdhsa_user_sgpr_dispatch_ptr 0
		.amdhsa_user_sgpr_queue_ptr 0
		.amdhsa_user_sgpr_kernarg_segment_ptr 1
		.amdhsa_user_sgpr_dispatch_id 0
		.amdhsa_user_sgpr_private_segment_size 0
		.amdhsa_wavefront_size32 1
		.amdhsa_uses_dynamic_stack 0
		.amdhsa_enable_private_segment 0
		.amdhsa_system_sgpr_workgroup_id_x 1
		.amdhsa_system_sgpr_workgroup_id_y 0
		.amdhsa_system_sgpr_workgroup_id_z 0
		.amdhsa_system_sgpr_workgroup_info 0
		.amdhsa_system_vgpr_workitem_id 0
		.amdhsa_next_free_vgpr 4
		.amdhsa_next_free_sgpr 16
		.amdhsa_reserve_vcc 1
		.amdhsa_float_round_mode_32 0
		.amdhsa_float_round_mode_16_64 0
		.amdhsa_float_denorm_mode_32 3
		.amdhsa_float_denorm_mode_16_64 3
		.amdhsa_dx10_clamp 1
		.amdhsa_ieee_mode 1
		.amdhsa_fp16_overflow 0
		.amdhsa_workgroup_processor_mode 1
		.amdhsa_memory_ordered 1
		.amdhsa_forward_progress 0
		.amdhsa_shared_vgpr_count 0
		.amdhsa_exception_fp_ieee_invalid_op 0
		.amdhsa_exception_fp_denorm_src 0
		.amdhsa_exception_fp_ieee_div_zero 0
		.amdhsa_exception_fp_ieee_overflow 0
		.amdhsa_exception_fp_ieee_underflow 0
		.amdhsa_exception_fp_ieee_inexact 0
		.amdhsa_exception_int_div_zero 0
	.end_amdhsa_kernel
	.section	.text._Z6kernelI13subtract_leftLj256ELj1ELb1EJPiS1_jEEvDpT3_,"axG",@progbits,_Z6kernelI13subtract_leftLj256ELj1ELb1EJPiS1_jEEvDpT3_,comdat
.Lfunc_end30:
	.size	_Z6kernelI13subtract_leftLj256ELj1ELb1EJPiS1_jEEvDpT3_, .Lfunc_end30-_Z6kernelI13subtract_leftLj256ELj1ELb1EJPiS1_jEEvDpT3_
                                        ; -- End function
	.section	.AMDGPU.csdata,"",@progbits
; Kernel info:
; codeLenInByte = 200
; NumSgprs: 18
; NumVgprs: 4
; ScratchSize: 0
; MemoryBound: 0
; FloatMode: 240
; IeeeMode: 1
; LDSByteSize: 2048 bytes/workgroup (compile time only)
; SGPRBlocks: 2
; VGPRBlocks: 0
; NumSGPRsForWavesPerEU: 18
; NumVGPRsForWavesPerEU: 4
; Occupancy: 16
; WaveLimiterHint : 0
; COMPUTE_PGM_RSRC2:SCRATCH_EN: 0
; COMPUTE_PGM_RSRC2:USER_SGPR: 15
; COMPUTE_PGM_RSRC2:TRAP_HANDLER: 0
; COMPUTE_PGM_RSRC2:TGID_X_EN: 1
; COMPUTE_PGM_RSRC2:TGID_Y_EN: 0
; COMPUTE_PGM_RSRC2:TGID_Z_EN: 0
; COMPUTE_PGM_RSRC2:TIDIG_COMP_CNT: 0
	.section	.text._Z6kernelI13subtract_leftLj256ELj3ELb1EJPiS1_jEEvDpT3_,"axG",@progbits,_Z6kernelI13subtract_leftLj256ELj3ELb1EJPiS1_jEEvDpT3_,comdat
	.protected	_Z6kernelI13subtract_leftLj256ELj3ELb1EJPiS1_jEEvDpT3_ ; -- Begin function _Z6kernelI13subtract_leftLj256ELj3ELb1EJPiS1_jEEvDpT3_
	.globl	_Z6kernelI13subtract_leftLj256ELj3ELb1EJPiS1_jEEvDpT3_
	.p2align	8
	.type	_Z6kernelI13subtract_leftLj256ELj3ELb1EJPiS1_jEEvDpT3_,@function
_Z6kernelI13subtract_leftLj256ELj3ELb1EJPiS1_jEEvDpT3_: ; @_Z6kernelI13subtract_leftLj256ELj3ELb1EJPiS1_jEEvDpT3_
; %bb.0:
	s_load_b128 s[4:7], s[0:1], 0x0
	s_mov_b32 s3, 0
	s_mul_i32 s2, s15, 0x300
	v_lshlrev_b32_e32 v1, 2, v0
	s_lshl_b64 s[2:3], s[2:3], 2
	s_load_b32 s0, s[0:1], 0x10
	s_waitcnt lgkmcnt(0)
	s_add_u32 s4, s4, s2
	s_addc_u32 s5, s5, s3
	s_clause 0x2
	global_load_b32 v3, v1, s[4:5]
	global_load_b32 v4, v1, s[4:5] offset:1024
	global_load_b32 v2, v1, s[4:5] offset:2048
	s_cmp_eq_u32 s0, 0
	s_cbranch_scc1 .LBB31_6
; %bb.1:
	v_cmp_ne_u32_e32 vcc_lo, 0, v0
	v_add_nc_u32_e32 v0, -4, v1
	.p2align	6
.LBB31_2:                               ; =>This Inner Loop Header: Depth=1
	v_mov_b32_e32 v5, 0x7b
	s_waitcnt vmcnt(0)
	ds_store_b32 v1, v2
	s_waitcnt lgkmcnt(0)
	s_barrier
	buffer_gl0_inv
	s_and_saveexec_b32 s1, vcc_lo
	s_cbranch_execz .LBB31_4
; %bb.3:                                ;   in Loop: Header=BB31_2 Depth=1
	ds_load_b32 v5, v0
.LBB31_4:                               ;   in Loop: Header=BB31_2 Depth=1
	s_or_b32 exec_lo, exec_lo, s1
	v_lshlrev_b32_e32 v6, 1, v3
	v_lshlrev_b32_e32 v7, 1, v4
	v_lshlrev_b32_e32 v2, 1, v2
	s_add_i32 s0, s0, -1
	s_waitcnt lgkmcnt(0)
	v_sub_nc_u32_e32 v6, v6, v5
	v_sub_nc_u32_e32 v5, v7, v3
	;; [unrolled: 1-line block ×3, first 2 shown]
	s_cmp_lg_u32 s0, 0
	s_barrier
	buffer_gl0_inv
	s_cbranch_scc0 .LBB31_7
; %bb.5:                                ;   in Loop: Header=BB31_2 Depth=1
	v_dual_mov_b32 v3, v6 :: v_dual_mov_b32 v4, v5
	s_branch .LBB31_2
.LBB31_6:
	s_waitcnt vmcnt(1)
	v_dual_mov_b32 v5, v4 :: v_dual_mov_b32 v6, v3
.LBB31_7:
	s_add_u32 s0, s6, s2
	s_addc_u32 s1, s7, s3
	s_clause 0x1
	global_store_b32 v1, v6, s[0:1]
	global_store_b32 v1, v5, s[0:1] offset:1024
	s_waitcnt vmcnt(0)
	global_store_b32 v1, v2, s[0:1] offset:2048
	s_nop 0
	s_sendmsg sendmsg(MSG_DEALLOC_VGPRS)
	s_endpgm
	.section	.rodata,"a",@progbits
	.p2align	6, 0x0
	.amdhsa_kernel _Z6kernelI13subtract_leftLj256ELj3ELb1EJPiS1_jEEvDpT3_
		.amdhsa_group_segment_fixed_size 2048
		.amdhsa_private_segment_fixed_size 0
		.amdhsa_kernarg_size 20
		.amdhsa_user_sgpr_count 15
		.amdhsa_user_sgpr_dispatch_ptr 0
		.amdhsa_user_sgpr_queue_ptr 0
		.amdhsa_user_sgpr_kernarg_segment_ptr 1
		.amdhsa_user_sgpr_dispatch_id 0
		.amdhsa_user_sgpr_private_segment_size 0
		.amdhsa_wavefront_size32 1
		.amdhsa_uses_dynamic_stack 0
		.amdhsa_enable_private_segment 0
		.amdhsa_system_sgpr_workgroup_id_x 1
		.amdhsa_system_sgpr_workgroup_id_y 0
		.amdhsa_system_sgpr_workgroup_id_z 0
		.amdhsa_system_sgpr_workgroup_info 0
		.amdhsa_system_vgpr_workitem_id 0
		.amdhsa_next_free_vgpr 8
		.amdhsa_next_free_sgpr 16
		.amdhsa_reserve_vcc 1
		.amdhsa_float_round_mode_32 0
		.amdhsa_float_round_mode_16_64 0
		.amdhsa_float_denorm_mode_32 3
		.amdhsa_float_denorm_mode_16_64 3
		.amdhsa_dx10_clamp 1
		.amdhsa_ieee_mode 1
		.amdhsa_fp16_overflow 0
		.amdhsa_workgroup_processor_mode 1
		.amdhsa_memory_ordered 1
		.amdhsa_forward_progress 0
		.amdhsa_shared_vgpr_count 0
		.amdhsa_exception_fp_ieee_invalid_op 0
		.amdhsa_exception_fp_denorm_src 0
		.amdhsa_exception_fp_ieee_div_zero 0
		.amdhsa_exception_fp_ieee_overflow 0
		.amdhsa_exception_fp_ieee_underflow 0
		.amdhsa_exception_fp_ieee_inexact 0
		.amdhsa_exception_int_div_zero 0
	.end_amdhsa_kernel
	.section	.text._Z6kernelI13subtract_leftLj256ELj3ELb1EJPiS1_jEEvDpT3_,"axG",@progbits,_Z6kernelI13subtract_leftLj256ELj3ELb1EJPiS1_jEEvDpT3_,comdat
.Lfunc_end31:
	.size	_Z6kernelI13subtract_leftLj256ELj3ELb1EJPiS1_jEEvDpT3_, .Lfunc_end31-_Z6kernelI13subtract_leftLj256ELj3ELb1EJPiS1_jEEvDpT3_
                                        ; -- End function
	.section	.AMDGPU.csdata,"",@progbits
; Kernel info:
; codeLenInByte = 276
; NumSgprs: 18
; NumVgprs: 8
; ScratchSize: 0
; MemoryBound: 0
; FloatMode: 240
; IeeeMode: 1
; LDSByteSize: 2048 bytes/workgroup (compile time only)
; SGPRBlocks: 2
; VGPRBlocks: 0
; NumSGPRsForWavesPerEU: 18
; NumVGPRsForWavesPerEU: 8
; Occupancy: 16
; WaveLimiterHint : 1
; COMPUTE_PGM_RSRC2:SCRATCH_EN: 0
; COMPUTE_PGM_RSRC2:USER_SGPR: 15
; COMPUTE_PGM_RSRC2:TRAP_HANDLER: 0
; COMPUTE_PGM_RSRC2:TGID_X_EN: 1
; COMPUTE_PGM_RSRC2:TGID_Y_EN: 0
; COMPUTE_PGM_RSRC2:TGID_Z_EN: 0
; COMPUTE_PGM_RSRC2:TIDIG_COMP_CNT: 0
	.section	.text._Z6kernelI13subtract_leftLj256ELj4ELb1EJPiS1_jEEvDpT3_,"axG",@progbits,_Z6kernelI13subtract_leftLj256ELj4ELb1EJPiS1_jEEvDpT3_,comdat
	.protected	_Z6kernelI13subtract_leftLj256ELj4ELb1EJPiS1_jEEvDpT3_ ; -- Begin function _Z6kernelI13subtract_leftLj256ELj4ELb1EJPiS1_jEEvDpT3_
	.globl	_Z6kernelI13subtract_leftLj256ELj4ELb1EJPiS1_jEEvDpT3_
	.p2align	8
	.type	_Z6kernelI13subtract_leftLj256ELj4ELb1EJPiS1_jEEvDpT3_,@function
_Z6kernelI13subtract_leftLj256ELj4ELb1EJPiS1_jEEvDpT3_: ; @_Z6kernelI13subtract_leftLj256ELj4ELb1EJPiS1_jEEvDpT3_
; %bb.0:
	s_load_b128 s[4:7], s[0:1], 0x0
	s_mov_b32 s3, 0
	s_lshl_b32 s2, s15, 10
	v_lshlrev_b32_e32 v1, 2, v0
	s_lshl_b64 s[2:3], s[2:3], 2
	s_load_b32 s0, s[0:1], 0x10
	s_waitcnt lgkmcnt(0)
	s_add_u32 s4, s4, s2
	s_addc_u32 s5, s5, s3
	s_clause 0x3
	global_load_b32 v3, v1, s[4:5]
	global_load_b32 v4, v1, s[4:5] offset:1024
	global_load_b32 v5, v1, s[4:5] offset:2048
	;; [unrolled: 1-line block ×3, first 2 shown]
	s_cmp_eq_u32 s0, 0
	s_cbranch_scc1 .LBB32_6
; %bb.1:
	v_cmp_ne_u32_e32 vcc_lo, 0, v0
	v_add_nc_u32_e32 v0, -4, v1
	.p2align	6
.LBB32_2:                               ; =>This Inner Loop Header: Depth=1
	v_mov_b32_e32 v6, 0x7b
	s_waitcnt vmcnt(0)
	ds_store_b32 v1, v2
	s_waitcnt lgkmcnt(0)
	s_barrier
	buffer_gl0_inv
	s_and_saveexec_b32 s1, vcc_lo
	s_cbranch_execz .LBB32_4
; %bb.3:                                ;   in Loop: Header=BB32_2 Depth=1
	ds_load_b32 v6, v0
.LBB32_4:                               ;   in Loop: Header=BB32_2 Depth=1
	s_or_b32 exec_lo, exec_lo, s1
	v_lshlrev_b32_e32 v7, 1, v3
	v_lshlrev_b32_e32 v9, 1, v4
	v_lshlrev_b32_e32 v10, 1, v5
	v_lshlrev_b32_e32 v2, 1, v2
	s_add_i32 s0, s0, -1
	s_waitcnt lgkmcnt(0)
	v_sub_nc_u32_e32 v8, v7, v6
	v_sub_nc_u32_e32 v7, v9, v3
	;; [unrolled: 1-line block ×4, first 2 shown]
	s_cmp_lg_u32 s0, 0
	s_barrier
	buffer_gl0_inv
	s_cbranch_scc0 .LBB32_7
; %bb.5:                                ;   in Loop: Header=BB32_2 Depth=1
	v_dual_mov_b32 v3, v8 :: v_dual_mov_b32 v4, v7
	v_mov_b32_e32 v5, v6
	s_branch .LBB32_2
.LBB32_6:
	s_waitcnt vmcnt(1)
	v_dual_mov_b32 v6, v5 :: v_dual_mov_b32 v7, v4
	v_mov_b32_e32 v8, v3
.LBB32_7:
	s_add_u32 s0, s6, s2
	s_addc_u32 s1, s7, s3
	s_clause 0x2
	global_store_b32 v1, v8, s[0:1]
	global_store_b32 v1, v7, s[0:1] offset:1024
	global_store_b32 v1, v6, s[0:1] offset:2048
	s_waitcnt vmcnt(0)
	global_store_b32 v1, v2, s[0:1] offset:3072
	s_nop 0
	s_sendmsg sendmsg(MSG_DEALLOC_VGPRS)
	s_endpgm
	.section	.rodata,"a",@progbits
	.p2align	6, 0x0
	.amdhsa_kernel _Z6kernelI13subtract_leftLj256ELj4ELb1EJPiS1_jEEvDpT3_
		.amdhsa_group_segment_fixed_size 2048
		.amdhsa_private_segment_fixed_size 0
		.amdhsa_kernarg_size 20
		.amdhsa_user_sgpr_count 15
		.amdhsa_user_sgpr_dispatch_ptr 0
		.amdhsa_user_sgpr_queue_ptr 0
		.amdhsa_user_sgpr_kernarg_segment_ptr 1
		.amdhsa_user_sgpr_dispatch_id 0
		.amdhsa_user_sgpr_private_segment_size 0
		.amdhsa_wavefront_size32 1
		.amdhsa_uses_dynamic_stack 0
		.amdhsa_enable_private_segment 0
		.amdhsa_system_sgpr_workgroup_id_x 1
		.amdhsa_system_sgpr_workgroup_id_y 0
		.amdhsa_system_sgpr_workgroup_id_z 0
		.amdhsa_system_sgpr_workgroup_info 0
		.amdhsa_system_vgpr_workitem_id 0
		.amdhsa_next_free_vgpr 11
		.amdhsa_next_free_sgpr 16
		.amdhsa_reserve_vcc 1
		.amdhsa_float_round_mode_32 0
		.amdhsa_float_round_mode_16_64 0
		.amdhsa_float_denorm_mode_32 3
		.amdhsa_float_denorm_mode_16_64 3
		.amdhsa_dx10_clamp 1
		.amdhsa_ieee_mode 1
		.amdhsa_fp16_overflow 0
		.amdhsa_workgroup_processor_mode 1
		.amdhsa_memory_ordered 1
		.amdhsa_forward_progress 0
		.amdhsa_shared_vgpr_count 0
		.amdhsa_exception_fp_ieee_invalid_op 0
		.amdhsa_exception_fp_denorm_src 0
		.amdhsa_exception_fp_ieee_div_zero 0
		.amdhsa_exception_fp_ieee_overflow 0
		.amdhsa_exception_fp_ieee_underflow 0
		.amdhsa_exception_fp_ieee_inexact 0
		.amdhsa_exception_int_div_zero 0
	.end_amdhsa_kernel
	.section	.text._Z6kernelI13subtract_leftLj256ELj4ELb1EJPiS1_jEEvDpT3_,"axG",@progbits,_Z6kernelI13subtract_leftLj256ELj4ELb1EJPiS1_jEEvDpT3_,comdat
.Lfunc_end32:
	.size	_Z6kernelI13subtract_leftLj256ELj4ELb1EJPiS1_jEEvDpT3_, .Lfunc_end32-_Z6kernelI13subtract_leftLj256ELj4ELb1EJPiS1_jEEvDpT3_
                                        ; -- End function
	.section	.AMDGPU.csdata,"",@progbits
; Kernel info:
; codeLenInByte = 304
; NumSgprs: 18
; NumVgprs: 11
; ScratchSize: 0
; MemoryBound: 0
; FloatMode: 240
; IeeeMode: 1
; LDSByteSize: 2048 bytes/workgroup (compile time only)
; SGPRBlocks: 2
; VGPRBlocks: 1
; NumSGPRsForWavesPerEU: 18
; NumVGPRsForWavesPerEU: 11
; Occupancy: 16
; WaveLimiterHint : 1
; COMPUTE_PGM_RSRC2:SCRATCH_EN: 0
; COMPUTE_PGM_RSRC2:USER_SGPR: 15
; COMPUTE_PGM_RSRC2:TRAP_HANDLER: 0
; COMPUTE_PGM_RSRC2:TGID_X_EN: 1
; COMPUTE_PGM_RSRC2:TGID_Y_EN: 0
; COMPUTE_PGM_RSRC2:TGID_Z_EN: 0
; COMPUTE_PGM_RSRC2:TIDIG_COMP_CNT: 0
	.section	.text._Z6kernelI13subtract_leftLj256ELj8ELb1EJPiS1_jEEvDpT3_,"axG",@progbits,_Z6kernelI13subtract_leftLj256ELj8ELb1EJPiS1_jEEvDpT3_,comdat
	.protected	_Z6kernelI13subtract_leftLj256ELj8ELb1EJPiS1_jEEvDpT3_ ; -- Begin function _Z6kernelI13subtract_leftLj256ELj8ELb1EJPiS1_jEEvDpT3_
	.globl	_Z6kernelI13subtract_leftLj256ELj8ELb1EJPiS1_jEEvDpT3_
	.p2align	8
	.type	_Z6kernelI13subtract_leftLj256ELj8ELb1EJPiS1_jEEvDpT3_,@function
_Z6kernelI13subtract_leftLj256ELj8ELb1EJPiS1_jEEvDpT3_: ; @_Z6kernelI13subtract_leftLj256ELj8ELb1EJPiS1_jEEvDpT3_
; %bb.0:
	s_load_b128 s[4:7], s[0:1], 0x0
	s_mov_b32 s3, 0
	s_lshl_b32 s2, s15, 11
	v_lshlrev_b32_e32 v1, 2, v0
	s_lshl_b64 s[2:3], s[2:3], 2
	s_load_b32 s0, s[0:1], 0x10
	s_waitcnt lgkmcnt(0)
	s_add_u32 s4, s4, s2
	s_addc_u32 s5, s5, s3
	v_add_co_u32 v2, s1, s4, v1
	s_delay_alu instid0(VALU_DEP_1) | instskip(SKIP_1) | instid1(VALU_DEP_2)
	v_add_co_ci_u32_e64 v3, null, s5, 0, s1
	s_cmp_eq_u32 s0, 0
	v_add_co_u32 v10, vcc_lo, 0x1000, v2
	s_delay_alu instid0(VALU_DEP_2)
	v_add_co_ci_u32_e32 v11, vcc_lo, 0, v3, vcc_lo
	s_clause 0x7
	global_load_b32 v5, v1, s[4:5]
	global_load_b32 v7, v1, s[4:5] offset:1024
	global_load_b32 v3, v1, s[4:5] offset:2048
	;; [unrolled: 1-line block ×3, first 2 shown]
	global_load_b32 v6, v[10:11], off
	global_load_b32 v8, v[10:11], off offset:1024
	global_load_b32 v9, v[10:11], off offset:2048
	;; [unrolled: 1-line block ×3, first 2 shown]
	s_cbranch_scc1 .LBB33_6
; %bb.1:
	v_cmp_ne_u32_e32 vcc_lo, 0, v0
	v_add_nc_u32_e32 v0, -4, v1
	s_set_inst_prefetch_distance 0x1
	.p2align	6
.LBB33_2:                               ; =>This Inner Loop Header: Depth=1
	v_mov_b32_e32 v10, 0x7b
	s_waitcnt vmcnt(0)
	ds_store_b32 v1, v2
	s_waitcnt lgkmcnt(0)
	s_barrier
	buffer_gl0_inv
	s_and_saveexec_b32 s1, vcc_lo
	s_cbranch_execz .LBB33_4
; %bb.3:                                ;   in Loop: Header=BB33_2 Depth=1
	ds_load_b32 v10, v0
.LBB33_4:                               ;   in Loop: Header=BB33_2 Depth=1
	s_or_b32 exec_lo, exec_lo, s1
	v_lshlrev_b32_e32 v11, 1, v5
	v_lshlrev_b32_e32 v12, 1, v7
	;; [unrolled: 1-line block ×5, first 2 shown]
	s_waitcnt lgkmcnt(0)
	v_sub_nc_u32_e32 v15, v11, v10
	v_sub_nc_u32_e32 v13, v12, v5
	v_sub_nc_u32_e32 v11, v14, v7
	v_lshlrev_b32_e32 v5, 1, v4
	v_lshlrev_b32_e32 v7, 1, v6
	;; [unrolled: 1-line block ×3, first 2 shown]
	v_sub_nc_u32_e32 v2, v2, v9
	s_add_i32 s0, s0, -1
	v_sub_nc_u32_e32 v16, v5, v3
	v_sub_nc_u32_e32 v14, v7, v4
	;; [unrolled: 1-line block ×4, first 2 shown]
	s_cmp_lg_u32 s0, 0
	s_barrier
	buffer_gl0_inv
	s_cbranch_scc0 .LBB33_7
; %bb.5:                                ;   in Loop: Header=BB33_2 Depth=1
	v_dual_mov_b32 v5, v15 :: v_dual_mov_b32 v4, v16
	v_dual_mov_b32 v7, v13 :: v_dual_mov_b32 v6, v14
	;; [unrolled: 1-line block ×3, first 2 shown]
	v_mov_b32_e32 v9, v10
	s_branch .LBB33_2
.LBB33_6:
	s_waitcnt vmcnt(1)
	v_dual_mov_b32 v10, v9 :: v_dual_mov_b32 v11, v3
	v_dual_mov_b32 v12, v8 :: v_dual_mov_b32 v13, v7
	;; [unrolled: 1-line block ×3, first 2 shown]
	v_mov_b32_e32 v16, v4
.LBB33_7:
	s_set_inst_prefetch_distance 0x2
	s_add_u32 s0, s6, s2
	s_addc_u32 s1, s7, s3
	v_add_co_u32 v0, s2, s0, v1
	s_delay_alu instid0(VALU_DEP_1) | instskip(NEXT) | instid1(VALU_DEP_2)
	v_add_co_ci_u32_e64 v4, null, s1, 0, s2
	v_add_co_u32 v3, vcc_lo, 0x1000, v0
	s_delay_alu instid0(VALU_DEP_2)
	v_add_co_ci_u32_e32 v4, vcc_lo, 0, v4, vcc_lo
	s_clause 0x6
	global_store_b32 v1, v15, s[0:1]
	global_store_b32 v1, v13, s[0:1] offset:1024
	global_store_b32 v1, v11, s[0:1] offset:2048
	;; [unrolled: 1-line block ×3, first 2 shown]
	global_store_b32 v[3:4], v14, off
	global_store_b32 v[3:4], v12, off offset:1024
	global_store_b32 v[3:4], v10, off offset:2048
	s_waitcnt vmcnt(0)
	global_store_b32 v[3:4], v2, off offset:3072
	s_nop 0
	s_sendmsg sendmsg(MSG_DEALLOC_VGPRS)
	s_endpgm
	.section	.rodata,"a",@progbits
	.p2align	6, 0x0
	.amdhsa_kernel _Z6kernelI13subtract_leftLj256ELj8ELb1EJPiS1_jEEvDpT3_
		.amdhsa_group_segment_fixed_size 2048
		.amdhsa_private_segment_fixed_size 0
		.amdhsa_kernarg_size 20
		.amdhsa_user_sgpr_count 15
		.amdhsa_user_sgpr_dispatch_ptr 0
		.amdhsa_user_sgpr_queue_ptr 0
		.amdhsa_user_sgpr_kernarg_segment_ptr 1
		.amdhsa_user_sgpr_dispatch_id 0
		.amdhsa_user_sgpr_private_segment_size 0
		.amdhsa_wavefront_size32 1
		.amdhsa_uses_dynamic_stack 0
		.amdhsa_enable_private_segment 0
		.amdhsa_system_sgpr_workgroup_id_x 1
		.amdhsa_system_sgpr_workgroup_id_y 0
		.amdhsa_system_sgpr_workgroup_id_z 0
		.amdhsa_system_sgpr_workgroup_info 0
		.amdhsa_system_vgpr_workitem_id 0
		.amdhsa_next_free_vgpr 18
		.amdhsa_next_free_sgpr 16
		.amdhsa_reserve_vcc 1
		.amdhsa_float_round_mode_32 0
		.amdhsa_float_round_mode_16_64 0
		.amdhsa_float_denorm_mode_32 3
		.amdhsa_float_denorm_mode_16_64 3
		.amdhsa_dx10_clamp 1
		.amdhsa_ieee_mode 1
		.amdhsa_fp16_overflow 0
		.amdhsa_workgroup_processor_mode 1
		.amdhsa_memory_ordered 1
		.amdhsa_forward_progress 0
		.amdhsa_shared_vgpr_count 0
		.amdhsa_exception_fp_ieee_invalid_op 0
		.amdhsa_exception_fp_denorm_src 0
		.amdhsa_exception_fp_ieee_div_zero 0
		.amdhsa_exception_fp_ieee_overflow 0
		.amdhsa_exception_fp_ieee_underflow 0
		.amdhsa_exception_fp_ieee_inexact 0
		.amdhsa_exception_int_div_zero 0
	.end_amdhsa_kernel
	.section	.text._Z6kernelI13subtract_leftLj256ELj8ELb1EJPiS1_jEEvDpT3_,"axG",@progbits,_Z6kernelI13subtract_leftLj256ELj8ELb1EJPiS1_jEEvDpT3_,comdat
.Lfunc_end33:
	.size	_Z6kernelI13subtract_leftLj256ELj8ELb1EJPiS1_jEEvDpT3_, .Lfunc_end33-_Z6kernelI13subtract_leftLj256ELj8ELb1EJPiS1_jEEvDpT3_
                                        ; -- End function
	.section	.AMDGPU.csdata,"",@progbits
; Kernel info:
; codeLenInByte = 520
; NumSgprs: 18
; NumVgprs: 18
; ScratchSize: 0
; MemoryBound: 0
; FloatMode: 240
; IeeeMode: 1
; LDSByteSize: 2048 bytes/workgroup (compile time only)
; SGPRBlocks: 2
; VGPRBlocks: 2
; NumSGPRsForWavesPerEU: 18
; NumVGPRsForWavesPerEU: 18
; Occupancy: 16
; WaveLimiterHint : 1
; COMPUTE_PGM_RSRC2:SCRATCH_EN: 0
; COMPUTE_PGM_RSRC2:USER_SGPR: 15
; COMPUTE_PGM_RSRC2:TRAP_HANDLER: 0
; COMPUTE_PGM_RSRC2:TGID_X_EN: 1
; COMPUTE_PGM_RSRC2:TGID_Y_EN: 0
; COMPUTE_PGM_RSRC2:TGID_Z_EN: 0
; COMPUTE_PGM_RSRC2:TIDIG_COMP_CNT: 0
	.section	.text._Z6kernelI13subtract_leftLj256ELj16ELb1EJPiS1_jEEvDpT3_,"axG",@progbits,_Z6kernelI13subtract_leftLj256ELj16ELb1EJPiS1_jEEvDpT3_,comdat
	.protected	_Z6kernelI13subtract_leftLj256ELj16ELb1EJPiS1_jEEvDpT3_ ; -- Begin function _Z6kernelI13subtract_leftLj256ELj16ELb1EJPiS1_jEEvDpT3_
	.globl	_Z6kernelI13subtract_leftLj256ELj16ELb1EJPiS1_jEEvDpT3_
	.p2align	8
	.type	_Z6kernelI13subtract_leftLj256ELj16ELb1EJPiS1_jEEvDpT3_,@function
_Z6kernelI13subtract_leftLj256ELj16ELb1EJPiS1_jEEvDpT3_: ; @_Z6kernelI13subtract_leftLj256ELj16ELb1EJPiS1_jEEvDpT3_
; %bb.0:
	s_load_b128 s[4:7], s[0:1], 0x0
	s_mov_b32 s3, 0
	s_lshl_b32 s2, s15, 12
	v_lshlrev_b32_e32 v1, 2, v0
	s_lshl_b64 s[2:3], s[2:3], 2
	s_load_b32 s0, s[0:1], 0x10
	s_waitcnt lgkmcnt(0)
	s_add_u32 s4, s4, s2
	s_addc_u32 s5, s5, s3
	v_add_co_u32 v6, s1, s4, v1
	s_delay_alu instid0(VALU_DEP_1) | instskip(SKIP_1) | instid1(VALU_DEP_2)
	v_add_co_ci_u32_e64 v7, null, s5, 0, s1
	s_cmp_eq_u32 s0, 0
	v_add_co_u32 v2, vcc_lo, 0x1000, v6
	s_delay_alu instid0(VALU_DEP_2)
	v_add_co_ci_u32_e32 v3, vcc_lo, 0, v7, vcc_lo
	v_add_co_u32 v18, vcc_lo, v6, 0x2000
	v_add_co_ci_u32_e32 v19, vcc_lo, 0, v7, vcc_lo
	v_add_co_u32 v4, vcc_lo, 0x2000, v6
	;; [unrolled: 2-line block ×3, first 2 shown]
	v_add_co_ci_u32_e32 v21, vcc_lo, 0, v7, vcc_lo
	s_clause 0xf
	global_load_b32 v17, v[18:19], off
	global_load_b32 v16, v1, s[4:5]
	global_load_b32 v15, v1, s[4:5] offset:1024
	global_load_b32 v14, v1, s[4:5] offset:2048
	;; [unrolled: 1-line block ×3, first 2 shown]
	global_load_b32 v11, v[2:3], off offset:1024
	global_load_b32 v10, v[2:3], off offset:2048
	;; [unrolled: 1-line block ×6, first 2 shown]
	global_load_b32 v5, v[20:21], off
	global_load_b32 v4, v[20:21], off offset:1024
	global_load_b32 v3, v[20:21], off offset:2048
	global_load_b32 v12, v[18:19], off offset:-4096
	global_load_b32 v2, v[20:21], off offset:3072
	s_cbranch_scc1 .LBB34_5
; %bb.1:
	v_cmp_ne_u32_e32 vcc_lo, 0, v0
	v_add_nc_u32_e32 v0, -4, v1
	s_set_inst_prefetch_distance 0x1
	s_branch .LBB34_3
	.p2align	6
.LBB34_2:                               ;   in Loop: Header=BB34_3 Depth=1
	s_or_b32 exec_lo, exec_lo, s1
	v_sub_nc_u32_e32 v19, v2, v3
	v_sub_nc_u32_e32 v20, v3, v4
	;; [unrolled: 1-line block ×11, first 2 shown]
	s_waitcnt lgkmcnt(0)
	v_sub_nc_u32_e32 v18, v16, v18
	v_sub_nc_u32_e32 v30, v15, v16
	;; [unrolled: 1-line block ×5, first 2 shown]
	v_add_nc_u32_e32 v16, v18, v16
	v_add_nc_u32_e32 v15, v30, v15
	;; [unrolled: 1-line block ×16, first 2 shown]
	s_add_i32 s0, s0, -1
	s_delay_alu instid0(SALU_CYCLE_1)
	s_cmp_lg_u32 s0, 0
	s_barrier
	buffer_gl0_inv
	s_cbranch_scc0 .LBB34_5
.LBB34_3:                               ; =>This Inner Loop Header: Depth=1
	v_mov_b32_e32 v18, 0x7b
	s_waitcnt vmcnt(0)
	ds_store_b32 v1, v2
	s_waitcnt lgkmcnt(0)
	s_barrier
	buffer_gl0_inv
	s_and_saveexec_b32 s1, vcc_lo
	s_cbranch_execz .LBB34_2
; %bb.4:                                ;   in Loop: Header=BB34_3 Depth=1
	ds_load_b32 v18, v0
	s_branch .LBB34_2
.LBB34_5:
	s_set_inst_prefetch_distance 0x2
	s_add_u32 s0, s6, s2
	s_addc_u32 s1, s7, s3
	v_add_co_u32 v0, s2, s0, v1
	s_delay_alu instid0(VALU_DEP_1) | instskip(NEXT) | instid1(VALU_DEP_2)
	v_add_co_ci_u32_e64 v25, null, s1, 0, s2
	v_add_co_u32 v18, vcc_lo, 0x1000, v0
	s_delay_alu instid0(VALU_DEP_2)
	v_add_co_ci_u32_e32 v19, vcc_lo, 0, v25, vcc_lo
	v_add_co_u32 v20, vcc_lo, v0, 0x2000
	v_add_co_ci_u32_e32 v21, vcc_lo, 0, v25, vcc_lo
	v_add_co_u32 v22, vcc_lo, 0x2000, v0
	;; [unrolled: 2-line block ×3, first 2 shown]
	s_waitcnt vmcnt(15)
	global_store_b32 v[20:21], v17, off
	v_add_co_ci_u32_e32 v25, vcc_lo, 0, v25, vcc_lo
	s_waitcnt vmcnt(14)
	global_store_b32 v1, v16, s[0:1]
	s_waitcnt vmcnt(13)
	global_store_b32 v1, v15, s[0:1] offset:1024
	s_waitcnt vmcnt(12)
	global_store_b32 v1, v14, s[0:1] offset:2048
	;; [unrolled: 2-line block ×3, first 2 shown]
	s_waitcnt vmcnt(10)
	global_store_b32 v[18:19], v11, off offset:1024
	s_waitcnt vmcnt(9)
	global_store_b32 v[18:19], v10, off offset:2048
	;; [unrolled: 2-line block ×6, first 2 shown]
	s_waitcnt vmcnt(4)
	global_store_b32 v[24:25], v5, off
	s_waitcnt vmcnt(3)
	global_store_b32 v[24:25], v4, off offset:1024
	s_waitcnt vmcnt(2)
	global_store_b32 v[24:25], v3, off offset:2048
	s_waitcnt vmcnt(1)
	global_store_b32 v[20:21], v12, off offset:-4096
	s_waitcnt vmcnt(0)
	global_store_b32 v[24:25], v2, off offset:3072
	s_nop 0
	s_sendmsg sendmsg(MSG_DEALLOC_VGPRS)
	s_endpgm
	.section	.rodata,"a",@progbits
	.p2align	6, 0x0
	.amdhsa_kernel _Z6kernelI13subtract_leftLj256ELj16ELb1EJPiS1_jEEvDpT3_
		.amdhsa_group_segment_fixed_size 2048
		.amdhsa_private_segment_fixed_size 0
		.amdhsa_kernarg_size 20
		.amdhsa_user_sgpr_count 15
		.amdhsa_user_sgpr_dispatch_ptr 0
		.amdhsa_user_sgpr_queue_ptr 0
		.amdhsa_user_sgpr_kernarg_segment_ptr 1
		.amdhsa_user_sgpr_dispatch_id 0
		.amdhsa_user_sgpr_private_segment_size 0
		.amdhsa_wavefront_size32 1
		.amdhsa_uses_dynamic_stack 0
		.amdhsa_enable_private_segment 0
		.amdhsa_system_sgpr_workgroup_id_x 1
		.amdhsa_system_sgpr_workgroup_id_y 0
		.amdhsa_system_sgpr_workgroup_id_z 0
		.amdhsa_system_sgpr_workgroup_info 0
		.amdhsa_system_vgpr_workitem_id 0
		.amdhsa_next_free_vgpr 34
		.amdhsa_next_free_sgpr 16
		.amdhsa_reserve_vcc 1
		.amdhsa_float_round_mode_32 0
		.amdhsa_float_round_mode_16_64 0
		.amdhsa_float_denorm_mode_32 3
		.amdhsa_float_denorm_mode_16_64 3
		.amdhsa_dx10_clamp 1
		.amdhsa_ieee_mode 1
		.amdhsa_fp16_overflow 0
		.amdhsa_workgroup_processor_mode 1
		.amdhsa_memory_ordered 1
		.amdhsa_forward_progress 0
		.amdhsa_shared_vgpr_count 0
		.amdhsa_exception_fp_ieee_invalid_op 0
		.amdhsa_exception_fp_denorm_src 0
		.amdhsa_exception_fp_ieee_div_zero 0
		.amdhsa_exception_fp_ieee_overflow 0
		.amdhsa_exception_fp_ieee_underflow 0
		.amdhsa_exception_fp_ieee_inexact 0
		.amdhsa_exception_int_div_zero 0
	.end_amdhsa_kernel
	.section	.text._Z6kernelI13subtract_leftLj256ELj16ELb1EJPiS1_jEEvDpT3_,"axG",@progbits,_Z6kernelI13subtract_leftLj256ELj16ELb1EJPiS1_jEEvDpT3_,comdat
.Lfunc_end34:
	.size	_Z6kernelI13subtract_leftLj256ELj16ELb1EJPiS1_jEEvDpT3_, .Lfunc_end34-_Z6kernelI13subtract_leftLj256ELj16ELb1EJPiS1_jEEvDpT3_
                                        ; -- End function
	.section	.AMDGPU.csdata,"",@progbits
; Kernel info:
; codeLenInByte = 812
; NumSgprs: 18
; NumVgprs: 34
; ScratchSize: 0
; MemoryBound: 0
; FloatMode: 240
; IeeeMode: 1
; LDSByteSize: 2048 bytes/workgroup (compile time only)
; SGPRBlocks: 2
; VGPRBlocks: 4
; NumSGPRsForWavesPerEU: 18
; NumVGPRsForWavesPerEU: 34
; Occupancy: 16
; WaveLimiterHint : 1
; COMPUTE_PGM_RSRC2:SCRATCH_EN: 0
; COMPUTE_PGM_RSRC2:USER_SGPR: 15
; COMPUTE_PGM_RSRC2:TRAP_HANDLER: 0
; COMPUTE_PGM_RSRC2:TGID_X_EN: 1
; COMPUTE_PGM_RSRC2:TGID_Y_EN: 0
; COMPUTE_PGM_RSRC2:TGID_Z_EN: 0
; COMPUTE_PGM_RSRC2:TIDIG_COMP_CNT: 0
	.section	.text._Z6kernelI13subtract_leftLj256ELj32ELb1EJPiS1_jEEvDpT3_,"axG",@progbits,_Z6kernelI13subtract_leftLj256ELj32ELb1EJPiS1_jEEvDpT3_,comdat
	.protected	_Z6kernelI13subtract_leftLj256ELj32ELb1EJPiS1_jEEvDpT3_ ; -- Begin function _Z6kernelI13subtract_leftLj256ELj32ELb1EJPiS1_jEEvDpT3_
	.globl	_Z6kernelI13subtract_leftLj256ELj32ELb1EJPiS1_jEEvDpT3_
	.p2align	8
	.type	_Z6kernelI13subtract_leftLj256ELj32ELb1EJPiS1_jEEvDpT3_,@function
_Z6kernelI13subtract_leftLj256ELj32ELb1EJPiS1_jEEvDpT3_: ; @_Z6kernelI13subtract_leftLj256ELj32ELb1EJPiS1_jEEvDpT3_
; %bb.0:
	s_load_b128 s[4:7], s[0:1], 0x0
	s_mov_b32 s3, 0
	s_lshl_b32 s2, s15, 13
	v_lshlrev_b32_e32 v1, 2, v0
	s_lshl_b64 s[2:3], s[2:3], 2
	s_load_b32 s0, s[0:1], 0x10
	s_waitcnt lgkmcnt(0)
	s_add_u32 s4, s4, s2
	s_addc_u32 s5, s5, s3
	v_add_co_u32 v10, s1, s4, v1
	s_delay_alu instid0(VALU_DEP_1) | instskip(SKIP_1) | instid1(VALU_DEP_2)
	v_add_co_ci_u32_e64 v11, null, s5, 0, s1
	s_cmp_eq_u32 s0, 0
	v_add_co_u32 v2, vcc_lo, 0x1000, v10
	s_delay_alu instid0(VALU_DEP_2)
	v_add_co_ci_u32_e32 v3, vcc_lo, 0, v11, vcc_lo
	v_add_co_u32 v34, vcc_lo, v10, 0x2000
	v_add_co_ci_u32_e32 v35, vcc_lo, 0, v11, vcc_lo
	v_add_co_u32 v4, vcc_lo, 0x2000, v10
	v_add_co_ci_u32_e32 v5, vcc_lo, 0, v11, vcc_lo
	s_clause 0x7
	global_load_b32 v33, v1, s[4:5]
	global_load_b32 v32, v1, s[4:5] offset:1024
	global_load_b32 v31, v1, s[4:5] offset:2048
	;; [unrolled: 1-line block ×3, first 2 shown]
	global_load_b32 v28, v[2:3], off offset:1024
	global_load_b32 v27, v[2:3], off offset:2048
	;; [unrolled: 1-line block ×4, first 2 shown]
	v_add_co_u32 v2, vcc_lo, 0x3000, v10
	v_add_co_ci_u32_e32 v3, vcc_lo, 0, v11, vcc_lo
	v_add_co_u32 v6, vcc_lo, v10, 0x4000
	v_add_co_ci_u32_e32 v7, vcc_lo, 0, v11, vcc_lo
	;; [unrolled: 2-line block ×3, first 2 shown]
	s_clause 0x7
	global_load_b32 v23, v[4:5], off offset:2048
	global_load_b32 v22, v[4:5], off offset:3072
	;; [unrolled: 1-line block ×8, first 2 shown]
	v_add_co_u32 v2, vcc_lo, 0x5000, v10
	v_add_co_ci_u32_e32 v3, vcc_lo, 0, v11, vcc_lo
	v_add_co_u32 v4, vcc_lo, v10, 0x6000
	v_add_co_ci_u32_e32 v5, vcc_lo, 0, v11, vcc_lo
	;; [unrolled: 2-line block ×3, first 2 shown]
	v_add_co_u32 v38, vcc_lo, 0x7000, v10
	s_clause 0x4
	global_load_b32 v25, v[34:35], off
	global_load_b32 v21, v[6:7], off offset:-4096
	global_load_b32 v17, v[6:7], off
	global_load_b32 v13, v[4:5], off offset:-4096
	global_load_b32 v9, v[4:5], off
	v_add_co_ci_u32_e32 v39, vcc_lo, 0, v11, vcc_lo
	s_clause 0xa
	global_load_b32 v12, v[2:3], off offset:1024
	global_load_b32 v11, v[2:3], off offset:2048
	global_load_b32 v10, v[2:3], off offset:3072
	global_load_b32 v8, v[36:37], off offset:1024
	global_load_b32 v7, v[36:37], off offset:2048
	global_load_b32 v6, v[36:37], off offset:3072
	global_load_b32 v5, v[38:39], off
	global_load_b32 v4, v[38:39], off offset:1024
	global_load_b32 v3, v[38:39], off offset:2048
	global_load_b32 v29, v[34:35], off offset:-4096
	global_load_b32 v2, v[38:39], off offset:3072
	s_cbranch_scc1 .LBB35_5
; %bb.1:
	v_cmp_ne_u32_e32 vcc_lo, 0, v0
	v_add_nc_u32_e32 v0, -4, v1
	s_branch .LBB35_3
.LBB35_2:                               ;   in Loop: Header=BB35_3 Depth=1
	s_or_b32 exec_lo, exec_lo, s1
	v_sub_nc_u32_e32 v35, v2, v3
	v_sub_nc_u32_e32 v36, v3, v4
	;; [unrolled: 1-line block ×27, first 2 shown]
	s_waitcnt lgkmcnt(0)
	v_sub_nc_u32_e32 v34, v33, v34
	v_sub_nc_u32_e32 v62, v32, v33
	;; [unrolled: 1-line block ×5, first 2 shown]
	v_add_nc_u32_e32 v33, v34, v33
	v_add_nc_u32_e32 v32, v62, v32
	;; [unrolled: 1-line block ×32, first 2 shown]
	s_add_i32 s0, s0, -1
	s_delay_alu instid0(SALU_CYCLE_1)
	s_cmp_lg_u32 s0, 0
	s_barrier
	buffer_gl0_inv
	s_cbranch_scc0 .LBB35_5
.LBB35_3:                               ; =>This Inner Loop Header: Depth=1
	v_mov_b32_e32 v34, 0x7b
	s_waitcnt vmcnt(0)
	ds_store_b32 v1, v2
	s_waitcnt lgkmcnt(0)
	s_barrier
	buffer_gl0_inv
	s_and_saveexec_b32 s1, vcc_lo
	s_cbranch_execz .LBB35_2
; %bb.4:                                ;   in Loop: Header=BB35_3 Depth=1
	ds_load_b32 v34, v0
	s_branch .LBB35_2
.LBB35_5:
	s_add_u32 s0, s6, s2
	s_addc_u32 s1, s7, s3
	v_add_co_u32 v40, s2, s0, v1
	s_delay_alu instid0(VALU_DEP_1) | instskip(NEXT) | instid1(VALU_DEP_2)
	v_add_co_ci_u32_e64 v41, null, s1, 0, s2
	v_add_co_u32 v34, vcc_lo, 0x1000, v40
	s_delay_alu instid0(VALU_DEP_2)
	v_add_co_ci_u32_e32 v35, vcc_lo, 0, v41, vcc_lo
	v_add_co_u32 v36, vcc_lo, v40, 0x2000
	v_add_co_ci_u32_e32 v37, vcc_lo, 0, v41, vcc_lo
	v_add_co_u32 v38, vcc_lo, 0x2000, v40
	;; [unrolled: 2-line block ×3, first 2 shown]
	s_waitcnt vmcnt(31)
	global_store_b32 v1, v33, s[0:1]
	s_waitcnt vmcnt(30)
	global_store_b32 v1, v32, s[0:1] offset:1024
	s_waitcnt vmcnt(29)
	global_store_b32 v1, v31, s[0:1] offset:2048
	;; [unrolled: 2-line block ×3, first 2 shown]
	s_waitcnt vmcnt(27)
	global_store_b32 v[34:35], v28, off offset:1024
	s_waitcnt vmcnt(26)
	global_store_b32 v[34:35], v27, off offset:2048
	;; [unrolled: 2-line block ×4, first 2 shown]
	v_add_co_ci_u32_e32 v1, vcc_lo, 0, v41, vcc_lo
	v_add_co_u32 v26, vcc_lo, v40, 0x4000
	v_add_co_ci_u32_e32 v27, vcc_lo, 0, v41, vcc_lo
	v_add_co_u32 v30, vcc_lo, 0x4000, v40
	v_add_co_ci_u32_e32 v31, vcc_lo, 0, v41, vcc_lo
	s_waitcnt vmcnt(23)
	global_store_b32 v[38:39], v23, off offset:2048
	s_waitcnt vmcnt(22)
	global_store_b32 v[38:39], v22, off offset:3072
	;; [unrolled: 2-line block ×8, first 2 shown]
	v_add_co_u32 v0, vcc_lo, 0x5000, v40
	v_add_co_ci_u32_e32 v1, vcc_lo, 0, v41, vcc_lo
	v_add_co_u32 v14, vcc_lo, v40, 0x6000
	v_add_co_ci_u32_e32 v15, vcc_lo, 0, v41, vcc_lo
	;; [unrolled: 2-line block ×3, first 2 shown]
	s_waitcnt vmcnt(15)
	global_store_b32 v[36:37], v25, off
	s_waitcnt vmcnt(14)
	global_store_b32 v[26:27], v21, off offset:-4096
	s_waitcnt vmcnt(13)
	global_store_b32 v[26:27], v17, off
	s_waitcnt vmcnt(12)
	global_store_b32 v[14:15], v13, off offset:-4096
	s_waitcnt vmcnt(11)
	global_store_b32 v[14:15], v9, off
	v_add_co_u32 v13, vcc_lo, 0x7000, v40
	v_add_co_ci_u32_e32 v14, vcc_lo, 0, v41, vcc_lo
	s_waitcnt vmcnt(10)
	global_store_b32 v[0:1], v12, off offset:1024
	s_waitcnt vmcnt(9)
	global_store_b32 v[0:1], v11, off offset:2048
	;; [unrolled: 2-line block ×6, first 2 shown]
	s_waitcnt vmcnt(4)
	global_store_b32 v[13:14], v5, off
	s_waitcnt vmcnt(3)
	global_store_b32 v[13:14], v4, off offset:1024
	s_waitcnt vmcnt(2)
	global_store_b32 v[13:14], v3, off offset:2048
	s_waitcnt vmcnt(1)
	global_store_b32 v[36:37], v29, off offset:-4096
	s_waitcnt vmcnt(0)
	global_store_b32 v[13:14], v2, off offset:3072
	s_nop 0
	s_sendmsg sendmsg(MSG_DEALLOC_VGPRS)
	s_endpgm
	.section	.rodata,"a",@progbits
	.p2align	6, 0x0
	.amdhsa_kernel _Z6kernelI13subtract_leftLj256ELj32ELb1EJPiS1_jEEvDpT3_
		.amdhsa_group_segment_fixed_size 2048
		.amdhsa_private_segment_fixed_size 0
		.amdhsa_kernarg_size 20
		.amdhsa_user_sgpr_count 15
		.amdhsa_user_sgpr_dispatch_ptr 0
		.amdhsa_user_sgpr_queue_ptr 0
		.amdhsa_user_sgpr_kernarg_segment_ptr 1
		.amdhsa_user_sgpr_dispatch_id 0
		.amdhsa_user_sgpr_private_segment_size 0
		.amdhsa_wavefront_size32 1
		.amdhsa_uses_dynamic_stack 0
		.amdhsa_enable_private_segment 0
		.amdhsa_system_sgpr_workgroup_id_x 1
		.amdhsa_system_sgpr_workgroup_id_y 0
		.amdhsa_system_sgpr_workgroup_id_z 0
		.amdhsa_system_sgpr_workgroup_info 0
		.amdhsa_system_vgpr_workitem_id 0
		.amdhsa_next_free_vgpr 66
		.amdhsa_next_free_sgpr 16
		.amdhsa_reserve_vcc 1
		.amdhsa_float_round_mode_32 0
		.amdhsa_float_round_mode_16_64 0
		.amdhsa_float_denorm_mode_32 3
		.amdhsa_float_denorm_mode_16_64 3
		.amdhsa_dx10_clamp 1
		.amdhsa_ieee_mode 1
		.amdhsa_fp16_overflow 0
		.amdhsa_workgroup_processor_mode 1
		.amdhsa_memory_ordered 1
		.amdhsa_forward_progress 0
		.amdhsa_shared_vgpr_count 0
		.amdhsa_exception_fp_ieee_invalid_op 0
		.amdhsa_exception_fp_denorm_src 0
		.amdhsa_exception_fp_ieee_div_zero 0
		.amdhsa_exception_fp_ieee_overflow 0
		.amdhsa_exception_fp_ieee_underflow 0
		.amdhsa_exception_fp_ieee_inexact 0
		.amdhsa_exception_int_div_zero 0
	.end_amdhsa_kernel
	.section	.text._Z6kernelI13subtract_leftLj256ELj32ELb1EJPiS1_jEEvDpT3_,"axG",@progbits,_Z6kernelI13subtract_leftLj256ELj32ELb1EJPiS1_jEEvDpT3_,comdat
.Lfunc_end35:
	.size	_Z6kernelI13subtract_leftLj256ELj32ELb1EJPiS1_jEEvDpT3_, .Lfunc_end35-_Z6kernelI13subtract_leftLj256ELj32ELb1EJPiS1_jEEvDpT3_
                                        ; -- End function
	.section	.AMDGPU.csdata,"",@progbits
; Kernel info:
; codeLenInByte = 1456
; NumSgprs: 18
; NumVgprs: 66
; ScratchSize: 0
; MemoryBound: 0
; FloatMode: 240
; IeeeMode: 1
; LDSByteSize: 2048 bytes/workgroup (compile time only)
; SGPRBlocks: 2
; VGPRBlocks: 8
; NumSGPRsForWavesPerEU: 18
; NumVGPRsForWavesPerEU: 66
; Occupancy: 16
; WaveLimiterHint : 1
; COMPUTE_PGM_RSRC2:SCRATCH_EN: 0
; COMPUTE_PGM_RSRC2:USER_SGPR: 15
; COMPUTE_PGM_RSRC2:TRAP_HANDLER: 0
; COMPUTE_PGM_RSRC2:TGID_X_EN: 1
; COMPUTE_PGM_RSRC2:TGID_Y_EN: 0
; COMPUTE_PGM_RSRC2:TGID_Z_EN: 0
; COMPUTE_PGM_RSRC2:TIDIG_COMP_CNT: 0
	.section	.text._Z6kernelI13subtract_leftLj256ELj1ELb1EJPfS1_jEEvDpT3_,"axG",@progbits,_Z6kernelI13subtract_leftLj256ELj1ELb1EJPfS1_jEEvDpT3_,comdat
	.protected	_Z6kernelI13subtract_leftLj256ELj1ELb1EJPfS1_jEEvDpT3_ ; -- Begin function _Z6kernelI13subtract_leftLj256ELj1ELb1EJPfS1_jEEvDpT3_
	.globl	_Z6kernelI13subtract_leftLj256ELj1ELb1EJPfS1_jEEvDpT3_
	.p2align	8
	.type	_Z6kernelI13subtract_leftLj256ELj1ELb1EJPfS1_jEEvDpT3_,@function
_Z6kernelI13subtract_leftLj256ELj1ELb1EJPfS1_jEEvDpT3_: ; @_Z6kernelI13subtract_leftLj256ELj1ELb1EJPfS1_jEEvDpT3_
; %bb.0:
	s_load_b128 s[4:7], s[0:1], 0x0
	s_lshl_b32 s2, s15, 8
	s_mov_b32 s3, 0
	v_lshlrev_b32_e32 v1, 2, v0
	s_lshl_b64 s[2:3], s[2:3], 2
	s_load_b32 s0, s[0:1], 0x10
	s_waitcnt lgkmcnt(0)
	s_add_u32 s4, s4, s2
	s_addc_u32 s5, s5, s3
	global_load_b32 v2, v1, s[4:5]
	s_cmp_eq_u32 s0, 0
	s_cbranch_scc1 .LBB36_5
; %bb.1:
	v_cmp_ne_u32_e32 vcc_lo, 0, v0
	v_add_nc_u32_e32 v0, -4, v1
	s_branch .LBB36_3
	.p2align	6
.LBB36_2:                               ;   in Loop: Header=BB36_3 Depth=1
	s_or_b32 exec_lo, exec_lo, s1
	s_waitcnt lgkmcnt(0)
	v_sub_f32_e32 v3, v2, v3
	s_add_i32 s0, s0, -1
	s_delay_alu instid0(SALU_CYCLE_1) | instskip(SKIP_1) | instid1(VALU_DEP_1)
	s_cmp_lg_u32 s0, 0
	s_barrier
	v_add_f32_e32 v2, v2, v3
	buffer_gl0_inv
	s_cbranch_scc0 .LBB36_5
.LBB36_3:                               ; =>This Inner Loop Header: Depth=1
	v_mov_b32_e32 v3, 0x42f60000
	s_waitcnt vmcnt(0)
	ds_store_b32 v1, v2
	s_waitcnt lgkmcnt(0)
	s_barrier
	buffer_gl0_inv
	s_and_saveexec_b32 s1, vcc_lo
	s_cbranch_execz .LBB36_2
; %bb.4:                                ;   in Loop: Header=BB36_3 Depth=1
	ds_load_b32 v3, v0
	s_branch .LBB36_2
.LBB36_5:
	s_add_u32 s0, s6, s2
	s_addc_u32 s1, s7, s3
	s_waitcnt vmcnt(0)
	global_store_b32 v1, v2, s[0:1]
	s_nop 0
	s_sendmsg sendmsg(MSG_DEALLOC_VGPRS)
	s_endpgm
	.section	.rodata,"a",@progbits
	.p2align	6, 0x0
	.amdhsa_kernel _Z6kernelI13subtract_leftLj256ELj1ELb1EJPfS1_jEEvDpT3_
		.amdhsa_group_segment_fixed_size 2048
		.amdhsa_private_segment_fixed_size 0
		.amdhsa_kernarg_size 20
		.amdhsa_user_sgpr_count 15
		.amdhsa_user_sgpr_dispatch_ptr 0
		.amdhsa_user_sgpr_queue_ptr 0
		.amdhsa_user_sgpr_kernarg_segment_ptr 1
		.amdhsa_user_sgpr_dispatch_id 0
		.amdhsa_user_sgpr_private_segment_size 0
		.amdhsa_wavefront_size32 1
		.amdhsa_uses_dynamic_stack 0
		.amdhsa_enable_private_segment 0
		.amdhsa_system_sgpr_workgroup_id_x 1
		.amdhsa_system_sgpr_workgroup_id_y 0
		.amdhsa_system_sgpr_workgroup_id_z 0
		.amdhsa_system_sgpr_workgroup_info 0
		.amdhsa_system_vgpr_workitem_id 0
		.amdhsa_next_free_vgpr 4
		.amdhsa_next_free_sgpr 16
		.amdhsa_reserve_vcc 1
		.amdhsa_float_round_mode_32 0
		.amdhsa_float_round_mode_16_64 0
		.amdhsa_float_denorm_mode_32 3
		.amdhsa_float_denorm_mode_16_64 3
		.amdhsa_dx10_clamp 1
		.amdhsa_ieee_mode 1
		.amdhsa_fp16_overflow 0
		.amdhsa_workgroup_processor_mode 1
		.amdhsa_memory_ordered 1
		.amdhsa_forward_progress 0
		.amdhsa_shared_vgpr_count 0
		.amdhsa_exception_fp_ieee_invalid_op 0
		.amdhsa_exception_fp_denorm_src 0
		.amdhsa_exception_fp_ieee_div_zero 0
		.amdhsa_exception_fp_ieee_overflow 0
		.amdhsa_exception_fp_ieee_underflow 0
		.amdhsa_exception_fp_ieee_inexact 0
		.amdhsa_exception_int_div_zero 0
	.end_amdhsa_kernel
	.section	.text._Z6kernelI13subtract_leftLj256ELj1ELb1EJPfS1_jEEvDpT3_,"axG",@progbits,_Z6kernelI13subtract_leftLj256ELj1ELb1EJPfS1_jEEvDpT3_,comdat
.Lfunc_end36:
	.size	_Z6kernelI13subtract_leftLj256ELj1ELb1EJPfS1_jEEvDpT3_, .Lfunc_end36-_Z6kernelI13subtract_leftLj256ELj1ELb1EJPfS1_jEEvDpT3_
                                        ; -- End function
	.section	.AMDGPU.csdata,"",@progbits
; Kernel info:
; codeLenInByte = 204
; NumSgprs: 18
; NumVgprs: 4
; ScratchSize: 0
; MemoryBound: 0
; FloatMode: 240
; IeeeMode: 1
; LDSByteSize: 2048 bytes/workgroup (compile time only)
; SGPRBlocks: 2
; VGPRBlocks: 0
; NumSGPRsForWavesPerEU: 18
; NumVGPRsForWavesPerEU: 4
; Occupancy: 16
; WaveLimiterHint : 0
; COMPUTE_PGM_RSRC2:SCRATCH_EN: 0
; COMPUTE_PGM_RSRC2:USER_SGPR: 15
; COMPUTE_PGM_RSRC2:TRAP_HANDLER: 0
; COMPUTE_PGM_RSRC2:TGID_X_EN: 1
; COMPUTE_PGM_RSRC2:TGID_Y_EN: 0
; COMPUTE_PGM_RSRC2:TGID_Z_EN: 0
; COMPUTE_PGM_RSRC2:TIDIG_COMP_CNT: 0
	.section	.text._Z6kernelI13subtract_leftLj256ELj3ELb1EJPfS1_jEEvDpT3_,"axG",@progbits,_Z6kernelI13subtract_leftLj256ELj3ELb1EJPfS1_jEEvDpT3_,comdat
	.protected	_Z6kernelI13subtract_leftLj256ELj3ELb1EJPfS1_jEEvDpT3_ ; -- Begin function _Z6kernelI13subtract_leftLj256ELj3ELb1EJPfS1_jEEvDpT3_
	.globl	_Z6kernelI13subtract_leftLj256ELj3ELb1EJPfS1_jEEvDpT3_
	.p2align	8
	.type	_Z6kernelI13subtract_leftLj256ELj3ELb1EJPfS1_jEEvDpT3_,@function
_Z6kernelI13subtract_leftLj256ELj3ELb1EJPfS1_jEEvDpT3_: ; @_Z6kernelI13subtract_leftLj256ELj3ELb1EJPfS1_jEEvDpT3_
; %bb.0:
	s_load_b128 s[4:7], s[0:1], 0x0
	s_mov_b32 s3, 0
	s_mul_i32 s2, s15, 0x300
	v_lshlrev_b32_e32 v1, 2, v0
	s_lshl_b64 s[2:3], s[2:3], 2
	s_load_b32 s0, s[0:1], 0x10
	s_waitcnt lgkmcnt(0)
	s_add_u32 s4, s4, s2
	s_addc_u32 s5, s5, s3
	s_clause 0x2
	global_load_b32 v4, v1, s[4:5]
	global_load_b32 v3, v1, s[4:5] offset:1024
	global_load_b32 v2, v1, s[4:5] offset:2048
	s_cmp_eq_u32 s0, 0
	s_cbranch_scc1 .LBB37_5
; %bb.1:
	v_cmp_ne_u32_e32 vcc_lo, 0, v0
	v_add_nc_u32_e32 v0, -4, v1
	s_branch .LBB37_3
	.p2align	6
.LBB37_2:                               ;   in Loop: Header=BB37_3 Depth=1
	s_or_b32 exec_lo, exec_lo, s1
	s_waitcnt lgkmcnt(0)
	v_dual_sub_f32 v5, v4, v5 :: v_dual_sub_f32 v6, v3, v4
	v_sub_f32_e32 v7, v2, v3
	s_add_i32 s0, s0, -1
	s_delay_alu instid0(VALU_DEP_2) | instskip(NEXT) | instid1(VALU_DEP_2)
	v_dual_add_f32 v4, v4, v5 :: v_dual_add_f32 v3, v3, v6
	v_add_f32_e32 v2, v2, v7
	s_cmp_lg_u32 s0, 0
	s_barrier
	buffer_gl0_inv
	s_cbranch_scc0 .LBB37_5
.LBB37_3:                               ; =>This Inner Loop Header: Depth=1
	v_mov_b32_e32 v5, 0x42f60000
	s_waitcnt vmcnt(0)
	ds_store_b32 v1, v2
	s_waitcnt lgkmcnt(0)
	s_barrier
	buffer_gl0_inv
	s_and_saveexec_b32 s1, vcc_lo
	s_cbranch_execz .LBB37_2
; %bb.4:                                ;   in Loop: Header=BB37_3 Depth=1
	ds_load_b32 v5, v0
	s_branch .LBB37_2
.LBB37_5:
	s_add_u32 s0, s6, s2
	s_addc_u32 s1, s7, s3
	s_waitcnt vmcnt(2)
	global_store_b32 v1, v4, s[0:1]
	s_waitcnt vmcnt(1)
	global_store_b32 v1, v3, s[0:1] offset:1024
	s_waitcnt vmcnt(0)
	global_store_b32 v1, v2, s[0:1] offset:2048
	s_nop 0
	s_sendmsg sendmsg(MSG_DEALLOC_VGPRS)
	s_endpgm
	.section	.rodata,"a",@progbits
	.p2align	6, 0x0
	.amdhsa_kernel _Z6kernelI13subtract_leftLj256ELj3ELb1EJPfS1_jEEvDpT3_
		.amdhsa_group_segment_fixed_size 2048
		.amdhsa_private_segment_fixed_size 0
		.amdhsa_kernarg_size 20
		.amdhsa_user_sgpr_count 15
		.amdhsa_user_sgpr_dispatch_ptr 0
		.amdhsa_user_sgpr_queue_ptr 0
		.amdhsa_user_sgpr_kernarg_segment_ptr 1
		.amdhsa_user_sgpr_dispatch_id 0
		.amdhsa_user_sgpr_private_segment_size 0
		.amdhsa_wavefront_size32 1
		.amdhsa_uses_dynamic_stack 0
		.amdhsa_enable_private_segment 0
		.amdhsa_system_sgpr_workgroup_id_x 1
		.amdhsa_system_sgpr_workgroup_id_y 0
		.amdhsa_system_sgpr_workgroup_id_z 0
		.amdhsa_system_sgpr_workgroup_info 0
		.amdhsa_system_vgpr_workitem_id 0
		.amdhsa_next_free_vgpr 8
		.amdhsa_next_free_sgpr 16
		.amdhsa_reserve_vcc 1
		.amdhsa_float_round_mode_32 0
		.amdhsa_float_round_mode_16_64 0
		.amdhsa_float_denorm_mode_32 3
		.amdhsa_float_denorm_mode_16_64 3
		.amdhsa_dx10_clamp 1
		.amdhsa_ieee_mode 1
		.amdhsa_fp16_overflow 0
		.amdhsa_workgroup_processor_mode 1
		.amdhsa_memory_ordered 1
		.amdhsa_forward_progress 0
		.amdhsa_shared_vgpr_count 0
		.amdhsa_exception_fp_ieee_invalid_op 0
		.amdhsa_exception_fp_denorm_src 0
		.amdhsa_exception_fp_ieee_div_zero 0
		.amdhsa_exception_fp_ieee_overflow 0
		.amdhsa_exception_fp_ieee_underflow 0
		.amdhsa_exception_fp_ieee_inexact 0
		.amdhsa_exception_int_div_zero 0
	.end_amdhsa_kernel
	.section	.text._Z6kernelI13subtract_leftLj256ELj3ELb1EJPfS1_jEEvDpT3_,"axG",@progbits,_Z6kernelI13subtract_leftLj256ELj3ELb1EJPfS1_jEEvDpT3_,comdat
.Lfunc_end37:
	.size	_Z6kernelI13subtract_leftLj256ELj3ELb1EJPfS1_jEEvDpT3_, .Lfunc_end37-_Z6kernelI13subtract_leftLj256ELj3ELb1EJPfS1_jEEvDpT3_
                                        ; -- End function
	.section	.AMDGPU.csdata,"",@progbits
; Kernel info:
; codeLenInByte = 268
; NumSgprs: 18
; NumVgprs: 8
; ScratchSize: 0
; MemoryBound: 0
; FloatMode: 240
; IeeeMode: 1
; LDSByteSize: 2048 bytes/workgroup (compile time only)
; SGPRBlocks: 2
; VGPRBlocks: 0
; NumSGPRsForWavesPerEU: 18
; NumVGPRsForWavesPerEU: 8
; Occupancy: 16
; WaveLimiterHint : 1
; COMPUTE_PGM_RSRC2:SCRATCH_EN: 0
; COMPUTE_PGM_RSRC2:USER_SGPR: 15
; COMPUTE_PGM_RSRC2:TRAP_HANDLER: 0
; COMPUTE_PGM_RSRC2:TGID_X_EN: 1
; COMPUTE_PGM_RSRC2:TGID_Y_EN: 0
; COMPUTE_PGM_RSRC2:TGID_Z_EN: 0
; COMPUTE_PGM_RSRC2:TIDIG_COMP_CNT: 0
	.section	.text._Z6kernelI13subtract_leftLj256ELj4ELb1EJPfS1_jEEvDpT3_,"axG",@progbits,_Z6kernelI13subtract_leftLj256ELj4ELb1EJPfS1_jEEvDpT3_,comdat
	.protected	_Z6kernelI13subtract_leftLj256ELj4ELb1EJPfS1_jEEvDpT3_ ; -- Begin function _Z6kernelI13subtract_leftLj256ELj4ELb1EJPfS1_jEEvDpT3_
	.globl	_Z6kernelI13subtract_leftLj256ELj4ELb1EJPfS1_jEEvDpT3_
	.p2align	8
	.type	_Z6kernelI13subtract_leftLj256ELj4ELb1EJPfS1_jEEvDpT3_,@function
_Z6kernelI13subtract_leftLj256ELj4ELb1EJPfS1_jEEvDpT3_: ; @_Z6kernelI13subtract_leftLj256ELj4ELb1EJPfS1_jEEvDpT3_
; %bb.0:
	s_load_b128 s[4:7], s[0:1], 0x0
	s_mov_b32 s3, 0
	s_lshl_b32 s2, s15, 10
	v_lshlrev_b32_e32 v1, 2, v0
	s_lshl_b64 s[2:3], s[2:3], 2
	s_load_b32 s0, s[0:1], 0x10
	s_waitcnt lgkmcnt(0)
	s_add_u32 s4, s4, s2
	s_addc_u32 s5, s5, s3
	s_clause 0x3
	global_load_b32 v5, v1, s[4:5]
	global_load_b32 v4, v1, s[4:5] offset:1024
	global_load_b32 v3, v1, s[4:5] offset:2048
	;; [unrolled: 1-line block ×3, first 2 shown]
	s_cmp_eq_u32 s0, 0
	s_cbranch_scc1 .LBB38_5
; %bb.1:
	v_cmp_ne_u32_e32 vcc_lo, 0, v0
	v_add_nc_u32_e32 v0, -4, v1
	s_branch .LBB38_3
	.p2align	6
.LBB38_2:                               ;   in Loop: Header=BB38_3 Depth=1
	s_or_b32 exec_lo, exec_lo, s1
	s_waitcnt lgkmcnt(0)
	v_dual_sub_f32 v6, v5, v6 :: v_dual_sub_f32 v7, v4, v5
	v_dual_sub_f32 v8, v3, v4 :: v_dual_sub_f32 v9, v2, v3
	s_add_i32 s0, s0, -1
	s_delay_alu instid0(VALU_DEP_2) | instskip(NEXT) | instid1(VALU_DEP_2)
	v_dual_add_f32 v5, v5, v6 :: v_dual_add_f32 v4, v4, v7
	v_dual_add_f32 v3, v3, v8 :: v_dual_add_f32 v2, v2, v9
	s_cmp_lg_u32 s0, 0
	s_barrier
	buffer_gl0_inv
	s_cbranch_scc0 .LBB38_5
.LBB38_3:                               ; =>This Inner Loop Header: Depth=1
	v_mov_b32_e32 v6, 0x42f60000
	s_waitcnt vmcnt(0)
	ds_store_b32 v1, v2
	s_waitcnt lgkmcnt(0)
	s_barrier
	buffer_gl0_inv
	s_and_saveexec_b32 s1, vcc_lo
	s_cbranch_execz .LBB38_2
; %bb.4:                                ;   in Loop: Header=BB38_3 Depth=1
	ds_load_b32 v6, v0
	s_branch .LBB38_2
.LBB38_5:
	s_add_u32 s0, s6, s2
	s_addc_u32 s1, s7, s3
	s_waitcnt vmcnt(3)
	global_store_b32 v1, v5, s[0:1]
	s_waitcnt vmcnt(2)
	global_store_b32 v1, v4, s[0:1] offset:1024
	s_waitcnt vmcnt(1)
	global_store_b32 v1, v3, s[0:1] offset:2048
	;; [unrolled: 2-line block ×3, first 2 shown]
	s_nop 0
	s_sendmsg sendmsg(MSG_DEALLOC_VGPRS)
	s_endpgm
	.section	.rodata,"a",@progbits
	.p2align	6, 0x0
	.amdhsa_kernel _Z6kernelI13subtract_leftLj256ELj4ELb1EJPfS1_jEEvDpT3_
		.amdhsa_group_segment_fixed_size 2048
		.amdhsa_private_segment_fixed_size 0
		.amdhsa_kernarg_size 20
		.amdhsa_user_sgpr_count 15
		.amdhsa_user_sgpr_dispatch_ptr 0
		.amdhsa_user_sgpr_queue_ptr 0
		.amdhsa_user_sgpr_kernarg_segment_ptr 1
		.amdhsa_user_sgpr_dispatch_id 0
		.amdhsa_user_sgpr_private_segment_size 0
		.amdhsa_wavefront_size32 1
		.amdhsa_uses_dynamic_stack 0
		.amdhsa_enable_private_segment 0
		.amdhsa_system_sgpr_workgroup_id_x 1
		.amdhsa_system_sgpr_workgroup_id_y 0
		.amdhsa_system_sgpr_workgroup_id_z 0
		.amdhsa_system_sgpr_workgroup_info 0
		.amdhsa_system_vgpr_workitem_id 0
		.amdhsa_next_free_vgpr 10
		.amdhsa_next_free_sgpr 16
		.amdhsa_reserve_vcc 1
		.amdhsa_float_round_mode_32 0
		.amdhsa_float_round_mode_16_64 0
		.amdhsa_float_denorm_mode_32 3
		.amdhsa_float_denorm_mode_16_64 3
		.amdhsa_dx10_clamp 1
		.amdhsa_ieee_mode 1
		.amdhsa_fp16_overflow 0
		.amdhsa_workgroup_processor_mode 1
		.amdhsa_memory_ordered 1
		.amdhsa_forward_progress 0
		.amdhsa_shared_vgpr_count 0
		.amdhsa_exception_fp_ieee_invalid_op 0
		.amdhsa_exception_fp_denorm_src 0
		.amdhsa_exception_fp_ieee_div_zero 0
		.amdhsa_exception_fp_ieee_overflow 0
		.amdhsa_exception_fp_ieee_underflow 0
		.amdhsa_exception_fp_ieee_inexact 0
		.amdhsa_exception_int_div_zero 0
	.end_amdhsa_kernel
	.section	.text._Z6kernelI13subtract_leftLj256ELj4ELb1EJPfS1_jEEvDpT3_,"axG",@progbits,_Z6kernelI13subtract_leftLj256ELj4ELb1EJPfS1_jEEvDpT3_,comdat
.Lfunc_end38:
	.size	_Z6kernelI13subtract_leftLj256ELj4ELb1EJPfS1_jEEvDpT3_, .Lfunc_end38-_Z6kernelI13subtract_leftLj256ELj4ELb1EJPfS1_jEEvDpT3_
                                        ; -- End function
	.section	.AMDGPU.csdata,"",@progbits
; Kernel info:
; codeLenInByte = 292
; NumSgprs: 18
; NumVgprs: 10
; ScratchSize: 0
; MemoryBound: 0
; FloatMode: 240
; IeeeMode: 1
; LDSByteSize: 2048 bytes/workgroup (compile time only)
; SGPRBlocks: 2
; VGPRBlocks: 1
; NumSGPRsForWavesPerEU: 18
; NumVGPRsForWavesPerEU: 10
; Occupancy: 16
; WaveLimiterHint : 1
; COMPUTE_PGM_RSRC2:SCRATCH_EN: 0
; COMPUTE_PGM_RSRC2:USER_SGPR: 15
; COMPUTE_PGM_RSRC2:TRAP_HANDLER: 0
; COMPUTE_PGM_RSRC2:TGID_X_EN: 1
; COMPUTE_PGM_RSRC2:TGID_Y_EN: 0
; COMPUTE_PGM_RSRC2:TGID_Z_EN: 0
; COMPUTE_PGM_RSRC2:TIDIG_COMP_CNT: 0
	.section	.text._Z6kernelI13subtract_leftLj256ELj8ELb1EJPfS1_jEEvDpT3_,"axG",@progbits,_Z6kernelI13subtract_leftLj256ELj8ELb1EJPfS1_jEEvDpT3_,comdat
	.protected	_Z6kernelI13subtract_leftLj256ELj8ELb1EJPfS1_jEEvDpT3_ ; -- Begin function _Z6kernelI13subtract_leftLj256ELj8ELb1EJPfS1_jEEvDpT3_
	.globl	_Z6kernelI13subtract_leftLj256ELj8ELb1EJPfS1_jEEvDpT3_
	.p2align	8
	.type	_Z6kernelI13subtract_leftLj256ELj8ELb1EJPfS1_jEEvDpT3_,@function
_Z6kernelI13subtract_leftLj256ELj8ELb1EJPfS1_jEEvDpT3_: ; @_Z6kernelI13subtract_leftLj256ELj8ELb1EJPfS1_jEEvDpT3_
; %bb.0:
	s_load_b128 s[4:7], s[0:1], 0x0
	s_mov_b32 s3, 0
	s_lshl_b32 s2, s15, 11
	v_lshlrev_b32_e32 v1, 2, v0
	s_lshl_b64 s[2:3], s[2:3], 2
	s_load_b32 s0, s[0:1], 0x10
	s_waitcnt lgkmcnt(0)
	s_add_u32 s4, s4, s2
	s_addc_u32 s5, s5, s3
	v_add_co_u32 v2, s1, s4, v1
	s_delay_alu instid0(VALU_DEP_1) | instskip(SKIP_1) | instid1(VALU_DEP_2)
	v_add_co_ci_u32_e64 v3, null, s5, 0, s1
	s_cmp_eq_u32 s0, 0
	v_add_co_u32 v10, vcc_lo, 0x1000, v2
	s_delay_alu instid0(VALU_DEP_2)
	v_add_co_ci_u32_e32 v11, vcc_lo, 0, v3, vcc_lo
	s_clause 0x7
	global_load_b32 v9, v1, s[4:5]
	global_load_b32 v8, v1, s[4:5] offset:1024
	global_load_b32 v7, v1, s[4:5] offset:2048
	;; [unrolled: 1-line block ×3, first 2 shown]
	global_load_b32 v5, v[10:11], off
	global_load_b32 v4, v[10:11], off offset:1024
	global_load_b32 v3, v[10:11], off offset:2048
	;; [unrolled: 1-line block ×3, first 2 shown]
	s_cbranch_scc1 .LBB39_5
; %bb.1:
	v_cmp_ne_u32_e32 vcc_lo, 0, v0
	v_add_nc_u32_e32 v0, -4, v1
	s_set_inst_prefetch_distance 0x1
	s_branch .LBB39_3
	.p2align	6
.LBB39_2:                               ;   in Loop: Header=BB39_3 Depth=1
	s_or_b32 exec_lo, exec_lo, s1
	v_dual_sub_f32 v11, v2, v3 :: v_dual_sub_f32 v12, v3, v4
	s_waitcnt lgkmcnt(0)
	v_dual_sub_f32 v13, v4, v5 :: v_dual_sub_f32 v10, v9, v10
	v_dual_sub_f32 v14, v8, v9 :: v_dual_sub_f32 v15, v7, v8
	;; [unrolled: 1-line block ×3, first 2 shown]
	s_delay_alu instid0(VALU_DEP_3) | instskip(NEXT) | instid1(VALU_DEP_3)
	v_add_f32_e32 v9, v9, v10
	v_dual_add_f32 v8, v8, v14 :: v_dual_add_f32 v7, v7, v15
	s_delay_alu instid0(VALU_DEP_3) | instskip(SKIP_3) | instid1(SALU_CYCLE_1)
	v_dual_add_f32 v6, v6, v16 :: v_dual_add_f32 v5, v5, v17
	v_add_f32_e32 v2, v2, v11
	v_dual_add_f32 v4, v4, v13 :: v_dual_add_f32 v3, v3, v12
	s_add_i32 s0, s0, -1
	s_cmp_lg_u32 s0, 0
	s_barrier
	buffer_gl0_inv
	s_cbranch_scc0 .LBB39_5
.LBB39_3:                               ; =>This Inner Loop Header: Depth=1
	v_mov_b32_e32 v10, 0x42f60000
	s_waitcnt vmcnt(0)
	ds_store_b32 v1, v2
	s_waitcnt lgkmcnt(0)
	s_barrier
	buffer_gl0_inv
	s_and_saveexec_b32 s1, vcc_lo
	s_cbranch_execz .LBB39_2
; %bb.4:                                ;   in Loop: Header=BB39_3 Depth=1
	ds_load_b32 v10, v0
	s_branch .LBB39_2
.LBB39_5:
	s_set_inst_prefetch_distance 0x2
	s_add_u32 s0, s6, s2
	s_addc_u32 s1, s7, s3
	v_add_co_u32 v0, s2, s0, v1
	s_delay_alu instid0(VALU_DEP_1) | instskip(NEXT) | instid1(VALU_DEP_2)
	v_add_co_ci_u32_e64 v11, null, s1, 0, s2
	v_add_co_u32 v10, vcc_lo, 0x1000, v0
	s_delay_alu instid0(VALU_DEP_2)
	v_add_co_ci_u32_e32 v11, vcc_lo, 0, v11, vcc_lo
	s_waitcnt vmcnt(7)
	global_store_b32 v1, v9, s[0:1]
	s_waitcnt vmcnt(6)
	global_store_b32 v1, v8, s[0:1] offset:1024
	s_waitcnt vmcnt(5)
	global_store_b32 v1, v7, s[0:1] offset:2048
	s_waitcnt vmcnt(4)
	global_store_b32 v1, v6, s[0:1] offset:3072
	s_waitcnt vmcnt(3)
	global_store_b32 v[10:11], v5, off
	s_waitcnt vmcnt(2)
	global_store_b32 v[10:11], v4, off offset:1024
	s_waitcnt vmcnt(1)
	global_store_b32 v[10:11], v3, off offset:2048
	;; [unrolled: 2-line block ×3, first 2 shown]
	s_nop 0
	s_sendmsg sendmsg(MSG_DEALLOC_VGPRS)
	s_endpgm
	.section	.rodata,"a",@progbits
	.p2align	6, 0x0
	.amdhsa_kernel _Z6kernelI13subtract_leftLj256ELj8ELb1EJPfS1_jEEvDpT3_
		.amdhsa_group_segment_fixed_size 2048
		.amdhsa_private_segment_fixed_size 0
		.amdhsa_kernarg_size 20
		.amdhsa_user_sgpr_count 15
		.amdhsa_user_sgpr_dispatch_ptr 0
		.amdhsa_user_sgpr_queue_ptr 0
		.amdhsa_user_sgpr_kernarg_segment_ptr 1
		.amdhsa_user_sgpr_dispatch_id 0
		.amdhsa_user_sgpr_private_segment_size 0
		.amdhsa_wavefront_size32 1
		.amdhsa_uses_dynamic_stack 0
		.amdhsa_enable_private_segment 0
		.amdhsa_system_sgpr_workgroup_id_x 1
		.amdhsa_system_sgpr_workgroup_id_y 0
		.amdhsa_system_sgpr_workgroup_id_z 0
		.amdhsa_system_sgpr_workgroup_info 0
		.amdhsa_system_vgpr_workitem_id 0
		.amdhsa_next_free_vgpr 18
		.amdhsa_next_free_sgpr 16
		.amdhsa_reserve_vcc 1
		.amdhsa_float_round_mode_32 0
		.amdhsa_float_round_mode_16_64 0
		.amdhsa_float_denorm_mode_32 3
		.amdhsa_float_denorm_mode_16_64 3
		.amdhsa_dx10_clamp 1
		.amdhsa_ieee_mode 1
		.amdhsa_fp16_overflow 0
		.amdhsa_workgroup_processor_mode 1
		.amdhsa_memory_ordered 1
		.amdhsa_forward_progress 0
		.amdhsa_shared_vgpr_count 0
		.amdhsa_exception_fp_ieee_invalid_op 0
		.amdhsa_exception_fp_denorm_src 0
		.amdhsa_exception_fp_ieee_div_zero 0
		.amdhsa_exception_fp_ieee_overflow 0
		.amdhsa_exception_fp_ieee_underflow 0
		.amdhsa_exception_fp_ieee_inexact 0
		.amdhsa_exception_int_div_zero 0
	.end_amdhsa_kernel
	.section	.text._Z6kernelI13subtract_leftLj256ELj8ELb1EJPfS1_jEEvDpT3_,"axG",@progbits,_Z6kernelI13subtract_leftLj256ELj8ELb1EJPfS1_jEEvDpT3_,comdat
.Lfunc_end39:
	.size	_Z6kernelI13subtract_leftLj256ELj8ELb1EJPfS1_jEEvDpT3_, .Lfunc_end39-_Z6kernelI13subtract_leftLj256ELj8ELb1EJPfS1_jEEvDpT3_
                                        ; -- End function
	.section	.AMDGPU.csdata,"",@progbits
; Kernel info:
; codeLenInByte = 496
; NumSgprs: 18
; NumVgprs: 18
; ScratchSize: 0
; MemoryBound: 0
; FloatMode: 240
; IeeeMode: 1
; LDSByteSize: 2048 bytes/workgroup (compile time only)
; SGPRBlocks: 2
; VGPRBlocks: 2
; NumSGPRsForWavesPerEU: 18
; NumVGPRsForWavesPerEU: 18
; Occupancy: 16
; WaveLimiterHint : 1
; COMPUTE_PGM_RSRC2:SCRATCH_EN: 0
; COMPUTE_PGM_RSRC2:USER_SGPR: 15
; COMPUTE_PGM_RSRC2:TRAP_HANDLER: 0
; COMPUTE_PGM_RSRC2:TGID_X_EN: 1
; COMPUTE_PGM_RSRC2:TGID_Y_EN: 0
; COMPUTE_PGM_RSRC2:TGID_Z_EN: 0
; COMPUTE_PGM_RSRC2:TIDIG_COMP_CNT: 0
	.section	.text._Z6kernelI13subtract_leftLj256ELj16ELb1EJPfS1_jEEvDpT3_,"axG",@progbits,_Z6kernelI13subtract_leftLj256ELj16ELb1EJPfS1_jEEvDpT3_,comdat
	.protected	_Z6kernelI13subtract_leftLj256ELj16ELb1EJPfS1_jEEvDpT3_ ; -- Begin function _Z6kernelI13subtract_leftLj256ELj16ELb1EJPfS1_jEEvDpT3_
	.globl	_Z6kernelI13subtract_leftLj256ELj16ELb1EJPfS1_jEEvDpT3_
	.p2align	8
	.type	_Z6kernelI13subtract_leftLj256ELj16ELb1EJPfS1_jEEvDpT3_,@function
_Z6kernelI13subtract_leftLj256ELj16ELb1EJPfS1_jEEvDpT3_: ; @_Z6kernelI13subtract_leftLj256ELj16ELb1EJPfS1_jEEvDpT3_
; %bb.0:
	s_load_b128 s[4:7], s[0:1], 0x0
	s_mov_b32 s3, 0
	s_lshl_b32 s2, s15, 12
	v_lshlrev_b32_e32 v1, 2, v0
	s_lshl_b64 s[2:3], s[2:3], 2
	s_load_b32 s0, s[0:1], 0x10
	s_waitcnt lgkmcnt(0)
	s_add_u32 s4, s4, s2
	s_addc_u32 s5, s5, s3
	v_add_co_u32 v6, s1, s4, v1
	s_delay_alu instid0(VALU_DEP_1) | instskip(SKIP_1) | instid1(VALU_DEP_2)
	v_add_co_ci_u32_e64 v7, null, s5, 0, s1
	s_cmp_eq_u32 s0, 0
	v_add_co_u32 v2, vcc_lo, 0x1000, v6
	s_delay_alu instid0(VALU_DEP_2)
	v_add_co_ci_u32_e32 v3, vcc_lo, 0, v7, vcc_lo
	v_add_co_u32 v18, vcc_lo, v6, 0x2000
	v_add_co_ci_u32_e32 v19, vcc_lo, 0, v7, vcc_lo
	v_add_co_u32 v4, vcc_lo, 0x2000, v6
	;; [unrolled: 2-line block ×3, first 2 shown]
	v_add_co_ci_u32_e32 v21, vcc_lo, 0, v7, vcc_lo
	s_clause 0xf
	global_load_b32 v17, v[18:19], off
	global_load_b32 v16, v1, s[4:5]
	global_load_b32 v15, v1, s[4:5] offset:1024
	global_load_b32 v14, v1, s[4:5] offset:2048
	;; [unrolled: 1-line block ×3, first 2 shown]
	global_load_b32 v11, v[2:3], off offset:1024
	global_load_b32 v10, v[2:3], off offset:2048
	;; [unrolled: 1-line block ×6, first 2 shown]
	global_load_b32 v5, v[20:21], off
	global_load_b32 v4, v[20:21], off offset:1024
	global_load_b32 v3, v[20:21], off offset:2048
	global_load_b32 v12, v[18:19], off offset:-4096
	global_load_b32 v2, v[20:21], off offset:3072
	s_cbranch_scc1 .LBB40_5
; %bb.1:
	v_cmp_ne_u32_e32 vcc_lo, 0, v0
	v_add_nc_u32_e32 v0, -4, v1
	s_set_inst_prefetch_distance 0x1
	s_branch .LBB40_3
	.p2align	6
.LBB40_2:                               ;   in Loop: Header=BB40_3 Depth=1
	s_or_b32 exec_lo, exec_lo, s1
	v_dual_sub_f32 v19, v2, v3 :: v_dual_sub_f32 v20, v3, v4
	v_dual_sub_f32 v21, v4, v5 :: v_dual_sub_f32 v22, v5, v6
	;; [unrolled: 1-line block ×6, first 2 shown]
	s_waitcnt lgkmcnt(0)
	v_dual_sub_f32 v18, v16, v18 :: v_dual_sub_f32 v31, v14, v15
	v_dual_sub_f32 v32, v13, v14 :: v_dual_sub_f32 v33, v12, v13
	s_delay_alu instid0(VALU_DEP_3) | instskip(NEXT) | instid1(VALU_DEP_3)
	v_add_f32_e32 v15, v15, v30
	v_add_f32_e32 v16, v16, v18
	s_delay_alu instid0(VALU_DEP_3) | instskip(NEXT) | instid1(VALU_DEP_4)
	v_dual_add_f32 v14, v14, v31 :: v_dual_add_f32 v13, v13, v32
	v_dual_add_f32 v12, v12, v33 :: v_dual_add_f32 v9, v9, v27
	;; [unrolled: 1-line block ×7, first 2 shown]
	s_add_i32 s0, s0, -1
	s_delay_alu instid0(SALU_CYCLE_1)
	s_cmp_lg_u32 s0, 0
	s_barrier
	buffer_gl0_inv
	s_cbranch_scc0 .LBB40_5
.LBB40_3:                               ; =>This Inner Loop Header: Depth=1
	v_mov_b32_e32 v18, 0x42f60000
	s_waitcnt vmcnt(0)
	ds_store_b32 v1, v2
	s_waitcnt lgkmcnt(0)
	s_barrier
	buffer_gl0_inv
	s_and_saveexec_b32 s1, vcc_lo
	s_cbranch_execz .LBB40_2
; %bb.4:                                ;   in Loop: Header=BB40_3 Depth=1
	ds_load_b32 v18, v0
	s_branch .LBB40_2
.LBB40_5:
	s_set_inst_prefetch_distance 0x2
	s_add_u32 s0, s6, s2
	s_addc_u32 s1, s7, s3
	v_add_co_u32 v0, s2, s0, v1
	s_delay_alu instid0(VALU_DEP_1) | instskip(NEXT) | instid1(VALU_DEP_2)
	v_add_co_ci_u32_e64 v25, null, s1, 0, s2
	v_add_co_u32 v18, vcc_lo, 0x1000, v0
	s_delay_alu instid0(VALU_DEP_2)
	v_add_co_ci_u32_e32 v19, vcc_lo, 0, v25, vcc_lo
	v_add_co_u32 v20, vcc_lo, v0, 0x2000
	v_add_co_ci_u32_e32 v21, vcc_lo, 0, v25, vcc_lo
	v_add_co_u32 v22, vcc_lo, 0x2000, v0
	;; [unrolled: 2-line block ×3, first 2 shown]
	s_waitcnt vmcnt(15)
	global_store_b32 v[20:21], v17, off
	v_add_co_ci_u32_e32 v25, vcc_lo, 0, v25, vcc_lo
	s_waitcnt vmcnt(14)
	global_store_b32 v1, v16, s[0:1]
	s_waitcnt vmcnt(13)
	global_store_b32 v1, v15, s[0:1] offset:1024
	s_waitcnt vmcnt(12)
	global_store_b32 v1, v14, s[0:1] offset:2048
	;; [unrolled: 2-line block ×3, first 2 shown]
	s_waitcnt vmcnt(10)
	global_store_b32 v[18:19], v11, off offset:1024
	s_waitcnt vmcnt(9)
	global_store_b32 v[18:19], v10, off offset:2048
	;; [unrolled: 2-line block ×6, first 2 shown]
	s_waitcnt vmcnt(4)
	global_store_b32 v[24:25], v5, off
	s_waitcnt vmcnt(3)
	global_store_b32 v[24:25], v4, off offset:1024
	s_waitcnt vmcnt(2)
	global_store_b32 v[24:25], v3, off offset:2048
	s_waitcnt vmcnt(1)
	global_store_b32 v[20:21], v12, off offset:-4096
	s_waitcnt vmcnt(0)
	global_store_b32 v[24:25], v2, off offset:3072
	s_nop 0
	s_sendmsg sendmsg(MSG_DEALLOC_VGPRS)
	s_endpgm
	.section	.rodata,"a",@progbits
	.p2align	6, 0x0
	.amdhsa_kernel _Z6kernelI13subtract_leftLj256ELj16ELb1EJPfS1_jEEvDpT3_
		.amdhsa_group_segment_fixed_size 2048
		.amdhsa_private_segment_fixed_size 0
		.amdhsa_kernarg_size 20
		.amdhsa_user_sgpr_count 15
		.amdhsa_user_sgpr_dispatch_ptr 0
		.amdhsa_user_sgpr_queue_ptr 0
		.amdhsa_user_sgpr_kernarg_segment_ptr 1
		.amdhsa_user_sgpr_dispatch_id 0
		.amdhsa_user_sgpr_private_segment_size 0
		.amdhsa_wavefront_size32 1
		.amdhsa_uses_dynamic_stack 0
		.amdhsa_enable_private_segment 0
		.amdhsa_system_sgpr_workgroup_id_x 1
		.amdhsa_system_sgpr_workgroup_id_y 0
		.amdhsa_system_sgpr_workgroup_id_z 0
		.amdhsa_system_sgpr_workgroup_info 0
		.amdhsa_system_vgpr_workitem_id 0
		.amdhsa_next_free_vgpr 34
		.amdhsa_next_free_sgpr 16
		.amdhsa_reserve_vcc 1
		.amdhsa_float_round_mode_32 0
		.amdhsa_float_round_mode_16_64 0
		.amdhsa_float_denorm_mode_32 3
		.amdhsa_float_denorm_mode_16_64 3
		.amdhsa_dx10_clamp 1
		.amdhsa_ieee_mode 1
		.amdhsa_fp16_overflow 0
		.amdhsa_workgroup_processor_mode 1
		.amdhsa_memory_ordered 1
		.amdhsa_forward_progress 0
		.amdhsa_shared_vgpr_count 0
		.amdhsa_exception_fp_ieee_invalid_op 0
		.amdhsa_exception_fp_denorm_src 0
		.amdhsa_exception_fp_ieee_div_zero 0
		.amdhsa_exception_fp_ieee_overflow 0
		.amdhsa_exception_fp_ieee_underflow 0
		.amdhsa_exception_fp_ieee_inexact 0
		.amdhsa_exception_int_div_zero 0
	.end_amdhsa_kernel
	.section	.text._Z6kernelI13subtract_leftLj256ELj16ELb1EJPfS1_jEEvDpT3_,"axG",@progbits,_Z6kernelI13subtract_leftLj256ELj16ELb1EJPfS1_jEEvDpT3_,comdat
.Lfunc_end40:
	.size	_Z6kernelI13subtract_leftLj256ELj16ELb1EJPfS1_jEEvDpT3_, .Lfunc_end40-_Z6kernelI13subtract_leftLj256ELj16ELb1EJPfS1_jEEvDpT3_
                                        ; -- End function
	.section	.AMDGPU.csdata,"",@progbits
; Kernel info:
; codeLenInByte = 820
; NumSgprs: 18
; NumVgprs: 34
; ScratchSize: 0
; MemoryBound: 0
; FloatMode: 240
; IeeeMode: 1
; LDSByteSize: 2048 bytes/workgroup (compile time only)
; SGPRBlocks: 2
; VGPRBlocks: 4
; NumSGPRsForWavesPerEU: 18
; NumVGPRsForWavesPerEU: 34
; Occupancy: 16
; WaveLimiterHint : 1
; COMPUTE_PGM_RSRC2:SCRATCH_EN: 0
; COMPUTE_PGM_RSRC2:USER_SGPR: 15
; COMPUTE_PGM_RSRC2:TRAP_HANDLER: 0
; COMPUTE_PGM_RSRC2:TGID_X_EN: 1
; COMPUTE_PGM_RSRC2:TGID_Y_EN: 0
; COMPUTE_PGM_RSRC2:TGID_Z_EN: 0
; COMPUTE_PGM_RSRC2:TIDIG_COMP_CNT: 0
	.section	.text._Z6kernelI13subtract_leftLj256ELj32ELb1EJPfS1_jEEvDpT3_,"axG",@progbits,_Z6kernelI13subtract_leftLj256ELj32ELb1EJPfS1_jEEvDpT3_,comdat
	.protected	_Z6kernelI13subtract_leftLj256ELj32ELb1EJPfS1_jEEvDpT3_ ; -- Begin function _Z6kernelI13subtract_leftLj256ELj32ELb1EJPfS1_jEEvDpT3_
	.globl	_Z6kernelI13subtract_leftLj256ELj32ELb1EJPfS1_jEEvDpT3_
	.p2align	8
	.type	_Z6kernelI13subtract_leftLj256ELj32ELb1EJPfS1_jEEvDpT3_,@function
_Z6kernelI13subtract_leftLj256ELj32ELb1EJPfS1_jEEvDpT3_: ; @_Z6kernelI13subtract_leftLj256ELj32ELb1EJPfS1_jEEvDpT3_
; %bb.0:
	s_load_b128 s[4:7], s[0:1], 0x0
	s_mov_b32 s3, 0
	s_lshl_b32 s2, s15, 13
	v_lshlrev_b32_e32 v1, 2, v0
	s_lshl_b64 s[2:3], s[2:3], 2
	s_load_b32 s0, s[0:1], 0x10
	s_waitcnt lgkmcnt(0)
	s_add_u32 s4, s4, s2
	s_addc_u32 s5, s5, s3
	v_add_co_u32 v10, s1, s4, v1
	s_delay_alu instid0(VALU_DEP_1) | instskip(SKIP_1) | instid1(VALU_DEP_2)
	v_add_co_ci_u32_e64 v11, null, s5, 0, s1
	s_cmp_eq_u32 s0, 0
	v_add_co_u32 v2, vcc_lo, 0x1000, v10
	s_delay_alu instid0(VALU_DEP_2)
	v_add_co_ci_u32_e32 v3, vcc_lo, 0, v11, vcc_lo
	v_add_co_u32 v34, vcc_lo, v10, 0x2000
	v_add_co_ci_u32_e32 v35, vcc_lo, 0, v11, vcc_lo
	v_add_co_u32 v4, vcc_lo, 0x2000, v10
	v_add_co_ci_u32_e32 v5, vcc_lo, 0, v11, vcc_lo
	s_clause 0x7
	global_load_b32 v33, v1, s[4:5]
	global_load_b32 v32, v1, s[4:5] offset:1024
	global_load_b32 v31, v1, s[4:5] offset:2048
	;; [unrolled: 1-line block ×3, first 2 shown]
	global_load_b32 v28, v[2:3], off offset:1024
	global_load_b32 v27, v[2:3], off offset:2048
	;; [unrolled: 1-line block ×4, first 2 shown]
	v_add_co_u32 v2, vcc_lo, 0x3000, v10
	v_add_co_ci_u32_e32 v3, vcc_lo, 0, v11, vcc_lo
	v_add_co_u32 v6, vcc_lo, v10, 0x4000
	v_add_co_ci_u32_e32 v7, vcc_lo, 0, v11, vcc_lo
	;; [unrolled: 2-line block ×3, first 2 shown]
	s_clause 0x7
	global_load_b32 v23, v[4:5], off offset:2048
	global_load_b32 v22, v[4:5], off offset:3072
	;; [unrolled: 1-line block ×8, first 2 shown]
	v_add_co_u32 v2, vcc_lo, 0x5000, v10
	v_add_co_ci_u32_e32 v3, vcc_lo, 0, v11, vcc_lo
	v_add_co_u32 v4, vcc_lo, v10, 0x6000
	v_add_co_ci_u32_e32 v5, vcc_lo, 0, v11, vcc_lo
	;; [unrolled: 2-line block ×3, first 2 shown]
	v_add_co_u32 v38, vcc_lo, 0x7000, v10
	s_clause 0x4
	global_load_b32 v25, v[34:35], off
	global_load_b32 v21, v[6:7], off offset:-4096
	global_load_b32 v17, v[6:7], off
	global_load_b32 v13, v[4:5], off offset:-4096
	global_load_b32 v9, v[4:5], off
	v_add_co_ci_u32_e32 v39, vcc_lo, 0, v11, vcc_lo
	s_clause 0xa
	global_load_b32 v12, v[2:3], off offset:1024
	global_load_b32 v11, v[2:3], off offset:2048
	;; [unrolled: 1-line block ×6, first 2 shown]
	global_load_b32 v5, v[38:39], off
	global_load_b32 v4, v[38:39], off offset:1024
	global_load_b32 v3, v[38:39], off offset:2048
	global_load_b32 v29, v[34:35], off offset:-4096
	global_load_b32 v2, v[38:39], off offset:3072
	s_cbranch_scc1 .LBB41_5
; %bb.1:
	v_cmp_ne_u32_e32 vcc_lo, 0, v0
	v_add_nc_u32_e32 v0, -4, v1
	s_branch .LBB41_3
.LBB41_2:                               ;   in Loop: Header=BB41_3 Depth=1
	s_or_b32 exec_lo, exec_lo, s1
	v_dual_sub_f32 v35, v2, v3 :: v_dual_sub_f32 v36, v3, v4
	v_dual_sub_f32 v37, v4, v5 :: v_dual_sub_f32 v38, v5, v6
	;; [unrolled: 1-line block ×13, first 2 shown]
	s_waitcnt lgkmcnt(0)
	v_dual_sub_f32 v61, v28, v29 :: v_dual_sub_f32 v34, v33, v34
	v_dual_sub_f32 v62, v32, v33 :: v_dual_sub_f32 v63, v31, v32
	;; [unrolled: 1-line block ×3, first 2 shown]
	s_delay_alu instid0(VALU_DEP_3) | instskip(NEXT) | instid1(VALU_DEP_3)
	v_add_f32_e32 v33, v33, v34
	v_dual_add_f32 v32, v32, v62 :: v_dual_add_f32 v31, v31, v63
	s_delay_alu instid0(VALU_DEP_3)
	v_dual_add_f32 v30, v30, v64 :: v_dual_add_f32 v29, v29, v65
	v_add_f32_e32 v26, v26, v59
	v_dual_add_f32 v28, v28, v61 :: v_dual_add_f32 v27, v27, v60
	v_dual_add_f32 v25, v25, v58 :: v_dual_add_f32 v24, v24, v57
	;; [unrolled: 1-line block ×13, first 2 shown]
	s_add_i32 s0, s0, -1
	s_delay_alu instid0(SALU_CYCLE_1)
	s_cmp_lg_u32 s0, 0
	s_barrier
	buffer_gl0_inv
	s_cbranch_scc0 .LBB41_5
.LBB41_3:                               ; =>This Inner Loop Header: Depth=1
	v_mov_b32_e32 v34, 0x42f60000
	s_waitcnt vmcnt(0)
	ds_store_b32 v1, v2
	s_waitcnt lgkmcnt(0)
	s_barrier
	buffer_gl0_inv
	s_and_saveexec_b32 s1, vcc_lo
	s_cbranch_execz .LBB41_2
; %bb.4:                                ;   in Loop: Header=BB41_3 Depth=1
	ds_load_b32 v34, v0
	s_branch .LBB41_2
.LBB41_5:
	s_add_u32 s0, s6, s2
	s_addc_u32 s1, s7, s3
	v_add_co_u32 v40, s2, s0, v1
	s_delay_alu instid0(VALU_DEP_1) | instskip(NEXT) | instid1(VALU_DEP_2)
	v_add_co_ci_u32_e64 v41, null, s1, 0, s2
	v_add_co_u32 v34, vcc_lo, 0x1000, v40
	s_delay_alu instid0(VALU_DEP_2)
	v_add_co_ci_u32_e32 v35, vcc_lo, 0, v41, vcc_lo
	v_add_co_u32 v36, vcc_lo, v40, 0x2000
	v_add_co_ci_u32_e32 v37, vcc_lo, 0, v41, vcc_lo
	v_add_co_u32 v38, vcc_lo, 0x2000, v40
	v_add_co_ci_u32_e32 v39, vcc_lo, 0, v41, vcc_lo
	v_add_co_u32 v0, vcc_lo, 0x3000, v40
	s_waitcnt vmcnt(31)
	global_store_b32 v1, v33, s[0:1]
	s_waitcnt vmcnt(30)
	global_store_b32 v1, v32, s[0:1] offset:1024
	s_waitcnt vmcnt(29)
	global_store_b32 v1, v31, s[0:1] offset:2048
	;; [unrolled: 2-line block ×3, first 2 shown]
	s_waitcnt vmcnt(27)
	global_store_b32 v[34:35], v28, off offset:1024
	s_waitcnt vmcnt(26)
	global_store_b32 v[34:35], v27, off offset:2048
	;; [unrolled: 2-line block ×4, first 2 shown]
	v_add_co_ci_u32_e32 v1, vcc_lo, 0, v41, vcc_lo
	v_add_co_u32 v26, vcc_lo, v40, 0x4000
	v_add_co_ci_u32_e32 v27, vcc_lo, 0, v41, vcc_lo
	v_add_co_u32 v30, vcc_lo, 0x4000, v40
	v_add_co_ci_u32_e32 v31, vcc_lo, 0, v41, vcc_lo
	s_waitcnt vmcnt(23)
	global_store_b32 v[38:39], v23, off offset:2048
	s_waitcnt vmcnt(22)
	global_store_b32 v[38:39], v22, off offset:3072
	s_waitcnt vmcnt(21)
	global_store_b32 v[0:1], v20, off offset:1024
	s_waitcnt vmcnt(20)
	global_store_b32 v[0:1], v19, off offset:2048
	s_waitcnt vmcnt(19)
	global_store_b32 v[0:1], v18, off offset:3072
	s_waitcnt vmcnt(18)
	global_store_b32 v[30:31], v16, off offset:1024
	s_waitcnt vmcnt(17)
	global_store_b32 v[30:31], v15, off offset:2048
	s_waitcnt vmcnt(16)
	global_store_b32 v[30:31], v14, off offset:3072
	v_add_co_u32 v0, vcc_lo, 0x5000, v40
	v_add_co_ci_u32_e32 v1, vcc_lo, 0, v41, vcc_lo
	v_add_co_u32 v14, vcc_lo, v40, 0x6000
	v_add_co_ci_u32_e32 v15, vcc_lo, 0, v41, vcc_lo
	;; [unrolled: 2-line block ×3, first 2 shown]
	s_waitcnt vmcnt(15)
	global_store_b32 v[36:37], v25, off
	s_waitcnt vmcnt(14)
	global_store_b32 v[26:27], v21, off offset:-4096
	s_waitcnt vmcnt(13)
	global_store_b32 v[26:27], v17, off
	s_waitcnt vmcnt(12)
	global_store_b32 v[14:15], v13, off offset:-4096
	s_waitcnt vmcnt(11)
	global_store_b32 v[14:15], v9, off
	v_add_co_u32 v13, vcc_lo, 0x7000, v40
	v_add_co_ci_u32_e32 v14, vcc_lo, 0, v41, vcc_lo
	s_waitcnt vmcnt(10)
	global_store_b32 v[0:1], v12, off offset:1024
	s_waitcnt vmcnt(9)
	global_store_b32 v[0:1], v11, off offset:2048
	;; [unrolled: 2-line block ×6, first 2 shown]
	s_waitcnt vmcnt(4)
	global_store_b32 v[13:14], v5, off
	s_waitcnt vmcnt(3)
	global_store_b32 v[13:14], v4, off offset:1024
	s_waitcnt vmcnt(2)
	global_store_b32 v[13:14], v3, off offset:2048
	s_waitcnt vmcnt(1)
	global_store_b32 v[36:37], v29, off offset:-4096
	s_waitcnt vmcnt(0)
	global_store_b32 v[13:14], v2, off offset:3072
	s_nop 0
	s_sendmsg sendmsg(MSG_DEALLOC_VGPRS)
	s_endpgm
	.section	.rodata,"a",@progbits
	.p2align	6, 0x0
	.amdhsa_kernel _Z6kernelI13subtract_leftLj256ELj32ELb1EJPfS1_jEEvDpT3_
		.amdhsa_group_segment_fixed_size 2048
		.amdhsa_private_segment_fixed_size 0
		.amdhsa_kernarg_size 20
		.amdhsa_user_sgpr_count 15
		.amdhsa_user_sgpr_dispatch_ptr 0
		.amdhsa_user_sgpr_queue_ptr 0
		.amdhsa_user_sgpr_kernarg_segment_ptr 1
		.amdhsa_user_sgpr_dispatch_id 0
		.amdhsa_user_sgpr_private_segment_size 0
		.amdhsa_wavefront_size32 1
		.amdhsa_uses_dynamic_stack 0
		.amdhsa_enable_private_segment 0
		.amdhsa_system_sgpr_workgroup_id_x 1
		.amdhsa_system_sgpr_workgroup_id_y 0
		.amdhsa_system_sgpr_workgroup_id_z 0
		.amdhsa_system_sgpr_workgroup_info 0
		.amdhsa_system_vgpr_workitem_id 0
		.amdhsa_next_free_vgpr 66
		.amdhsa_next_free_sgpr 16
		.amdhsa_reserve_vcc 1
		.amdhsa_float_round_mode_32 0
		.amdhsa_float_round_mode_16_64 0
		.amdhsa_float_denorm_mode_32 3
		.amdhsa_float_denorm_mode_16_64 3
		.amdhsa_dx10_clamp 1
		.amdhsa_ieee_mode 1
		.amdhsa_fp16_overflow 0
		.amdhsa_workgroup_processor_mode 1
		.amdhsa_memory_ordered 1
		.amdhsa_forward_progress 0
		.amdhsa_shared_vgpr_count 0
		.amdhsa_exception_fp_ieee_invalid_op 0
		.amdhsa_exception_fp_denorm_src 0
		.amdhsa_exception_fp_ieee_div_zero 0
		.amdhsa_exception_fp_ieee_overflow 0
		.amdhsa_exception_fp_ieee_underflow 0
		.amdhsa_exception_fp_ieee_inexact 0
		.amdhsa_exception_int_div_zero 0
	.end_amdhsa_kernel
	.section	.text._Z6kernelI13subtract_leftLj256ELj32ELb1EJPfS1_jEEvDpT3_,"axG",@progbits,_Z6kernelI13subtract_leftLj256ELj32ELb1EJPfS1_jEEvDpT3_,comdat
.Lfunc_end41:
	.size	_Z6kernelI13subtract_leftLj256ELj32ELb1EJPfS1_jEEvDpT3_, .Lfunc_end41-_Z6kernelI13subtract_leftLj256ELj32ELb1EJPfS1_jEEvDpT3_
                                        ; -- End function
	.section	.AMDGPU.csdata,"",@progbits
; Kernel info:
; codeLenInByte = 1464
; NumSgprs: 18
; NumVgprs: 66
; ScratchSize: 0
; MemoryBound: 0
; FloatMode: 240
; IeeeMode: 1
; LDSByteSize: 2048 bytes/workgroup (compile time only)
; SGPRBlocks: 2
; VGPRBlocks: 8
; NumSGPRsForWavesPerEU: 18
; NumVGPRsForWavesPerEU: 66
; Occupancy: 16
; WaveLimiterHint : 1
; COMPUTE_PGM_RSRC2:SCRATCH_EN: 0
; COMPUTE_PGM_RSRC2:USER_SGPR: 15
; COMPUTE_PGM_RSRC2:TRAP_HANDLER: 0
; COMPUTE_PGM_RSRC2:TGID_X_EN: 1
; COMPUTE_PGM_RSRC2:TGID_Y_EN: 0
; COMPUTE_PGM_RSRC2:TGID_Z_EN: 0
; COMPUTE_PGM_RSRC2:TIDIG_COMP_CNT: 0
	.section	.text._Z6kernelI13subtract_leftLj256ELj1ELb1EJPaS1_jEEvDpT3_,"axG",@progbits,_Z6kernelI13subtract_leftLj256ELj1ELb1EJPaS1_jEEvDpT3_,comdat
	.protected	_Z6kernelI13subtract_leftLj256ELj1ELb1EJPaS1_jEEvDpT3_ ; -- Begin function _Z6kernelI13subtract_leftLj256ELj1ELb1EJPaS1_jEEvDpT3_
	.globl	_Z6kernelI13subtract_leftLj256ELj1ELb1EJPaS1_jEEvDpT3_
	.p2align	8
	.type	_Z6kernelI13subtract_leftLj256ELj1ELb1EJPaS1_jEEvDpT3_,@function
_Z6kernelI13subtract_leftLj256ELj1ELb1EJPaS1_jEEvDpT3_: ; @_Z6kernelI13subtract_leftLj256ELj1ELb1EJPaS1_jEEvDpT3_
; %bb.0:
	s_load_b128 s[4:7], s[0:1], 0x0
	s_lshl_b32 s2, s15, 8
	s_load_b32 s0, s[0:1], 0x10
	s_waitcnt lgkmcnt(0)
	s_add_u32 s4, s4, s2
	s_addc_u32 s5, s5, 0
	s_cmp_eq_u32 s0, 0
	global_load_u8 v1, v0, s[4:5]
	s_cbranch_scc1 .LBB42_5
; %bb.1:
	v_cmp_ne_u32_e32 vcc_lo, 0, v0
	v_add_nc_u32_e32 v2, -1, v0
	s_branch .LBB42_3
	.p2align	6
.LBB42_2:                               ;   in Loop: Header=BB42_3 Depth=1
	s_or_b32 exec_lo, exec_lo, s1
	v_lshlrev_b16 v1, 1, v1
	s_add_i32 s0, s0, -1
	s_waitcnt lgkmcnt(0)
	s_cmp_lg_u32 s0, 0
	s_barrier
	v_sub_nc_u16 v1, v1, v3
	buffer_gl0_inv
	s_cbranch_scc0 .LBB42_5
.LBB42_3:                               ; =>This Inner Loop Header: Depth=1
	v_mov_b32_e32 v3, 0x7b
	s_waitcnt vmcnt(0)
	ds_store_b8 v0, v1
	s_waitcnt lgkmcnt(0)
	s_barrier
	buffer_gl0_inv
	s_and_saveexec_b32 s1, vcc_lo
	s_cbranch_execz .LBB42_2
; %bb.4:                                ;   in Loop: Header=BB42_3 Depth=1
	ds_load_u8 v3, v2
	s_branch .LBB42_2
.LBB42_5:
	s_add_u32 s0, s6, s2
	s_addc_u32 s1, s7, 0
	v_add_co_u32 v2, s0, s0, v0
	s_delay_alu instid0(VALU_DEP_1)
	v_add_co_ci_u32_e64 v3, null, s1, 0, s0
	s_waitcnt vmcnt(0)
	global_store_b8 v[2:3], v1, off
	s_nop 0
	s_sendmsg sendmsg(MSG_DEALLOC_VGPRS)
	s_endpgm
	.section	.rodata,"a",@progbits
	.p2align	6, 0x0
	.amdhsa_kernel _Z6kernelI13subtract_leftLj256ELj1ELb1EJPaS1_jEEvDpT3_
		.amdhsa_group_segment_fixed_size 512
		.amdhsa_private_segment_fixed_size 0
		.amdhsa_kernarg_size 20
		.amdhsa_user_sgpr_count 15
		.amdhsa_user_sgpr_dispatch_ptr 0
		.amdhsa_user_sgpr_queue_ptr 0
		.amdhsa_user_sgpr_kernarg_segment_ptr 1
		.amdhsa_user_sgpr_dispatch_id 0
		.amdhsa_user_sgpr_private_segment_size 0
		.amdhsa_wavefront_size32 1
		.amdhsa_uses_dynamic_stack 0
		.amdhsa_enable_private_segment 0
		.amdhsa_system_sgpr_workgroup_id_x 1
		.amdhsa_system_sgpr_workgroup_id_y 0
		.amdhsa_system_sgpr_workgroup_id_z 0
		.amdhsa_system_sgpr_workgroup_info 0
		.amdhsa_system_vgpr_workitem_id 0
		.amdhsa_next_free_vgpr 4
		.amdhsa_next_free_sgpr 16
		.amdhsa_reserve_vcc 1
		.amdhsa_float_round_mode_32 0
		.amdhsa_float_round_mode_16_64 0
		.amdhsa_float_denorm_mode_32 3
		.amdhsa_float_denorm_mode_16_64 3
		.amdhsa_dx10_clamp 1
		.amdhsa_ieee_mode 1
		.amdhsa_fp16_overflow 0
		.amdhsa_workgroup_processor_mode 1
		.amdhsa_memory_ordered 1
		.amdhsa_forward_progress 0
		.amdhsa_shared_vgpr_count 0
		.amdhsa_exception_fp_ieee_invalid_op 0
		.amdhsa_exception_fp_denorm_src 0
		.amdhsa_exception_fp_ieee_div_zero 0
		.amdhsa_exception_fp_ieee_overflow 0
		.amdhsa_exception_fp_ieee_underflow 0
		.amdhsa_exception_fp_ieee_inexact 0
		.amdhsa_exception_int_div_zero 0
	.end_amdhsa_kernel
	.section	.text._Z6kernelI13subtract_leftLj256ELj1ELb1EJPaS1_jEEvDpT3_,"axG",@progbits,_Z6kernelI13subtract_leftLj256ELj1ELb1EJPaS1_jEEvDpT3_,comdat
.Lfunc_end42:
	.size	_Z6kernelI13subtract_leftLj256ELj1ELb1EJPaS1_jEEvDpT3_, .Lfunc_end42-_Z6kernelI13subtract_leftLj256ELj1ELb1EJPaS1_jEEvDpT3_
                                        ; -- End function
	.section	.AMDGPU.csdata,"",@progbits
; Kernel info:
; codeLenInByte = 216
; NumSgprs: 18
; NumVgprs: 4
; ScratchSize: 0
; MemoryBound: 0
; FloatMode: 240
; IeeeMode: 1
; LDSByteSize: 512 bytes/workgroup (compile time only)
; SGPRBlocks: 2
; VGPRBlocks: 0
; NumSGPRsForWavesPerEU: 18
; NumVGPRsForWavesPerEU: 4
; Occupancy: 16
; WaveLimiterHint : 0
; COMPUTE_PGM_RSRC2:SCRATCH_EN: 0
; COMPUTE_PGM_RSRC2:USER_SGPR: 15
; COMPUTE_PGM_RSRC2:TRAP_HANDLER: 0
; COMPUTE_PGM_RSRC2:TGID_X_EN: 1
; COMPUTE_PGM_RSRC2:TGID_Y_EN: 0
; COMPUTE_PGM_RSRC2:TGID_Z_EN: 0
; COMPUTE_PGM_RSRC2:TIDIG_COMP_CNT: 0
	.section	.text._Z6kernelI13subtract_leftLj256ELj3ELb1EJPaS1_jEEvDpT3_,"axG",@progbits,_Z6kernelI13subtract_leftLj256ELj3ELb1EJPaS1_jEEvDpT3_,comdat
	.protected	_Z6kernelI13subtract_leftLj256ELj3ELb1EJPaS1_jEEvDpT3_ ; -- Begin function _Z6kernelI13subtract_leftLj256ELj3ELb1EJPaS1_jEEvDpT3_
	.globl	_Z6kernelI13subtract_leftLj256ELj3ELb1EJPaS1_jEEvDpT3_
	.p2align	8
	.type	_Z6kernelI13subtract_leftLj256ELj3ELb1EJPaS1_jEEvDpT3_,@function
_Z6kernelI13subtract_leftLj256ELj3ELb1EJPaS1_jEEvDpT3_: ; @_Z6kernelI13subtract_leftLj256ELj3ELb1EJPaS1_jEEvDpT3_
; %bb.0:
	s_load_b128 s[4:7], s[0:1], 0x0
	s_mul_i32 s2, s15, 0x300
	s_load_b32 s0, s[0:1], 0x10
	s_waitcnt lgkmcnt(0)
	s_add_u32 s4, s4, s2
	s_addc_u32 s5, s5, 0
	s_cmp_eq_u32 s0, 0
	s_clause 0x2
	global_load_u8 v1, v0, s[4:5] offset:256
	global_load_u8 v2, v0, s[4:5]
	global_load_u8 v3, v0, s[4:5] offset:512
	s_waitcnt vmcnt(2)
	v_lshlrev_b16 v1, 8, v1
	s_waitcnt vmcnt(1)
	s_delay_alu instid0(VALU_DEP_1) | instskip(NEXT) | instid1(VALU_DEP_1)
	v_or_b32_e32 v1, v2, v1
	v_and_b32_e32 v1, 0xffff, v1
	s_waitcnt vmcnt(0)
	s_delay_alu instid0(VALU_DEP_1)
	v_lshl_or_b32 v1, v3, 16, v1
	s_cbranch_scc1 .LBB43_5
; %bb.1:
	v_cmp_ne_u32_e32 vcc_lo, 0, v0
	v_add_nc_u32_e32 v2, -1, v0
	s_set_inst_prefetch_distance 0x1
	s_branch .LBB43_3
	.p2align	6
.LBB43_2:                               ;   in Loop: Header=BB43_3 Depth=1
	s_or_b32 exec_lo, exec_lo, s1
	v_lshrrev_b32_e32 v5, 8, v1
	v_lshlrev_b16 v6, 1, v1
	v_lshlrev_b16 v3, 1, v3
	s_add_i32 s0, s0, -1
	s_waitcnt lgkmcnt(0)
	v_lshlrev_b16 v7, 1, v5
	v_sub_nc_u16 v4, v6, v4
	v_sub_nc_u16 v3, v3, v5
	s_cmp_lg_u32 s0, 0
	s_barrier
	v_sub_nc_u16 v1, v7, v1
	v_and_b32_e32 v4, 0xff, v4
	v_and_b32_e32 v3, 0xff, v3
	buffer_gl0_inv
	v_lshlrev_b16 v1, 8, v1
	v_lshlrev_b32_e32 v3, 16, v3
	s_delay_alu instid0(VALU_DEP_2) | instskip(NEXT) | instid1(VALU_DEP_1)
	v_or_b32_e32 v1, v4, v1
	v_and_b32_e32 v1, 0xffff, v1
	s_delay_alu instid0(VALU_DEP_1)
	v_or_b32_e32 v1, v1, v3
	s_cbranch_scc0 .LBB43_5
.LBB43_3:                               ; =>This Inner Loop Header: Depth=1
	s_delay_alu instid0(VALU_DEP_1)
	v_lshrrev_b32_e32 v3, 16, v1
	v_mov_b32_e32 v4, 0x7b
	ds_store_b8 v0, v3
	s_waitcnt lgkmcnt(0)
	s_barrier
	buffer_gl0_inv
	s_and_saveexec_b32 s1, vcc_lo
	s_cbranch_execz .LBB43_2
; %bb.4:                                ;   in Loop: Header=BB43_3 Depth=1
	ds_load_u8 v4, v2
	s_branch .LBB43_2
.LBB43_5:
	s_set_inst_prefetch_distance 0x2
	s_add_u32 s0, s6, s2
	s_addc_u32 s1, s7, 0
	v_add_co_u32 v2, s0, s0, v0
	s_delay_alu instid0(VALU_DEP_1)
	v_add_co_ci_u32_e64 v3, null, s1, 0, s0
	v_lshrrev_b32_e32 v0, 8, v1
	s_clause 0x2
	global_store_b8 v[2:3], v1, off
	global_store_b8 v[2:3], v0, off offset:256
	global_store_d16_hi_b8 v[2:3], v1, off offset:512
	s_nop 0
	s_sendmsg sendmsg(MSG_DEALLOC_VGPRS)
	s_endpgm
	.section	.rodata,"a",@progbits
	.p2align	6, 0x0
	.amdhsa_kernel _Z6kernelI13subtract_leftLj256ELj3ELb1EJPaS1_jEEvDpT3_
		.amdhsa_group_segment_fixed_size 512
		.amdhsa_private_segment_fixed_size 0
		.amdhsa_kernarg_size 20
		.amdhsa_user_sgpr_count 15
		.amdhsa_user_sgpr_dispatch_ptr 0
		.amdhsa_user_sgpr_queue_ptr 0
		.amdhsa_user_sgpr_kernarg_segment_ptr 1
		.amdhsa_user_sgpr_dispatch_id 0
		.amdhsa_user_sgpr_private_segment_size 0
		.amdhsa_wavefront_size32 1
		.amdhsa_uses_dynamic_stack 0
		.amdhsa_enable_private_segment 0
		.amdhsa_system_sgpr_workgroup_id_x 1
		.amdhsa_system_sgpr_workgroup_id_y 0
		.amdhsa_system_sgpr_workgroup_id_z 0
		.amdhsa_system_sgpr_workgroup_info 0
		.amdhsa_system_vgpr_workitem_id 0
		.amdhsa_next_free_vgpr 8
		.amdhsa_next_free_sgpr 16
		.amdhsa_reserve_vcc 1
		.amdhsa_float_round_mode_32 0
		.amdhsa_float_round_mode_16_64 0
		.amdhsa_float_denorm_mode_32 3
		.amdhsa_float_denorm_mode_16_64 3
		.amdhsa_dx10_clamp 1
		.amdhsa_ieee_mode 1
		.amdhsa_fp16_overflow 0
		.amdhsa_workgroup_processor_mode 1
		.amdhsa_memory_ordered 1
		.amdhsa_forward_progress 0
		.amdhsa_shared_vgpr_count 0
		.amdhsa_exception_fp_ieee_invalid_op 0
		.amdhsa_exception_fp_denorm_src 0
		.amdhsa_exception_fp_ieee_div_zero 0
		.amdhsa_exception_fp_ieee_overflow 0
		.amdhsa_exception_fp_ieee_underflow 0
		.amdhsa_exception_fp_ieee_inexact 0
		.amdhsa_exception_int_div_zero 0
	.end_amdhsa_kernel
	.section	.text._Z6kernelI13subtract_leftLj256ELj3ELb1EJPaS1_jEEvDpT3_,"axG",@progbits,_Z6kernelI13subtract_leftLj256ELj3ELb1EJPaS1_jEEvDpT3_,comdat
.Lfunc_end43:
	.size	_Z6kernelI13subtract_leftLj256ELj3ELb1EJPaS1_jEEvDpT3_, .Lfunc_end43-_Z6kernelI13subtract_leftLj256ELj3ELb1EJPaS1_jEEvDpT3_
                                        ; -- End function
	.section	.AMDGPU.csdata,"",@progbits
; Kernel info:
; codeLenInByte = 408
; NumSgprs: 18
; NumVgprs: 8
; ScratchSize: 0
; MemoryBound: 0
; FloatMode: 240
; IeeeMode: 1
; LDSByteSize: 512 bytes/workgroup (compile time only)
; SGPRBlocks: 2
; VGPRBlocks: 0
; NumSGPRsForWavesPerEU: 18
; NumVGPRsForWavesPerEU: 8
; Occupancy: 16
; WaveLimiterHint : 1
; COMPUTE_PGM_RSRC2:SCRATCH_EN: 0
; COMPUTE_PGM_RSRC2:USER_SGPR: 15
; COMPUTE_PGM_RSRC2:TRAP_HANDLER: 0
; COMPUTE_PGM_RSRC2:TGID_X_EN: 1
; COMPUTE_PGM_RSRC2:TGID_Y_EN: 0
; COMPUTE_PGM_RSRC2:TGID_Z_EN: 0
; COMPUTE_PGM_RSRC2:TIDIG_COMP_CNT: 0
	.section	.text._Z6kernelI13subtract_leftLj256ELj4ELb1EJPaS1_jEEvDpT3_,"axG",@progbits,_Z6kernelI13subtract_leftLj256ELj4ELb1EJPaS1_jEEvDpT3_,comdat
	.protected	_Z6kernelI13subtract_leftLj256ELj4ELb1EJPaS1_jEEvDpT3_ ; -- Begin function _Z6kernelI13subtract_leftLj256ELj4ELb1EJPaS1_jEEvDpT3_
	.globl	_Z6kernelI13subtract_leftLj256ELj4ELb1EJPaS1_jEEvDpT3_
	.p2align	8
	.type	_Z6kernelI13subtract_leftLj256ELj4ELb1EJPaS1_jEEvDpT3_,@function
_Z6kernelI13subtract_leftLj256ELj4ELb1EJPaS1_jEEvDpT3_: ; @_Z6kernelI13subtract_leftLj256ELj4ELb1EJPaS1_jEEvDpT3_
; %bb.0:
	s_load_b128 s[4:7], s[0:1], 0x0
	s_lshl_b32 s2, s15, 10
	s_load_b32 s0, s[0:1], 0x10
	s_waitcnt lgkmcnt(0)
	s_add_u32 s4, s4, s2
	s_addc_u32 s5, s5, 0
	s_cmp_eq_u32 s0, 0
	s_clause 0x3
	global_load_u8 v1, v0, s[4:5] offset:256
	global_load_u8 v2, v0, s[4:5] offset:768
	global_load_u8 v3, v0, s[4:5]
	global_load_u8 v4, v0, s[4:5] offset:512
	s_waitcnt vmcnt(3)
	v_lshlrev_b16 v1, 8, v1
	s_waitcnt vmcnt(2)
	v_lshlrev_b16 v2, 8, v2
	s_waitcnt vmcnt(1)
	s_delay_alu instid0(VALU_DEP_2) | instskip(SKIP_1) | instid1(VALU_DEP_2)
	v_or_b32_e32 v1, v3, v1
	s_waitcnt vmcnt(0)
	v_or_b32_e32 v2, v4, v2
	s_delay_alu instid0(VALU_DEP_2) | instskip(NEXT) | instid1(VALU_DEP_2)
	v_and_b32_e32 v1, 0xffff, v1
	v_lshlrev_b32_e32 v2, 16, v2
	s_delay_alu instid0(VALU_DEP_1)
	v_or_b32_e32 v1, v1, v2
	s_cbranch_scc1 .LBB44_5
; %bb.1:
	v_cmp_ne_u32_e32 vcc_lo, 0, v0
	v_add_nc_u32_e32 v2, -1, v0
	s_set_inst_prefetch_distance 0x1
	s_branch .LBB44_3
	.p2align	6
.LBB44_2:                               ;   in Loop: Header=BB44_3 Depth=1
	s_or_b32 exec_lo, exec_lo, s1
	v_lshrrev_b32_e32 v5, 16, v1
	v_lshrrev_b32_e32 v6, 8, v1
	v_lshlrev_b16 v3, 1, v3
	v_lshlrev_b16 v7, 1, v1
	s_add_i32 s0, s0, -1
	v_lshlrev_b16 v8, 1, v5
	v_lshlrev_b16 v9, 1, v6
	v_sub_nc_u16 v3, v3, v5
	s_waitcnt lgkmcnt(0)
	v_sub_nc_u16 v4, v7, v4
	s_cmp_lg_u32 s0, 0
	v_sub_nc_u16 v5, v8, v6
	v_sub_nc_u16 v1, v9, v1
	v_lshlrev_b16 v3, 8, v3
	v_and_b32_e32 v4, 0xff, v4
	s_delay_alu instid0(VALU_DEP_4) | instskip(NEXT) | instid1(VALU_DEP_4)
	v_and_b32_e32 v5, 0xff, v5
	v_lshlrev_b16 v1, 8, v1
	s_barrier
	buffer_gl0_inv
	v_or_b32_e32 v3, v5, v3
	v_or_b32_e32 v1, v4, v1
	s_delay_alu instid0(VALU_DEP_2) | instskip(NEXT) | instid1(VALU_DEP_2)
	v_lshlrev_b32_e32 v3, 16, v3
	v_and_b32_e32 v1, 0xffff, v1
	s_delay_alu instid0(VALU_DEP_1)
	v_or_b32_e32 v1, v1, v3
	s_cbranch_scc0 .LBB44_5
.LBB44_3:                               ; =>This Inner Loop Header: Depth=1
	s_delay_alu instid0(VALU_DEP_1)
	v_lshrrev_b32_e32 v3, 24, v1
	v_mov_b32_e32 v4, 0x7b
	ds_store_b8 v0, v3
	s_waitcnt lgkmcnt(0)
	s_barrier
	buffer_gl0_inv
	s_and_saveexec_b32 s1, vcc_lo
	s_cbranch_execz .LBB44_2
; %bb.4:                                ;   in Loop: Header=BB44_3 Depth=1
	ds_load_u8 v4, v2
	s_branch .LBB44_2
.LBB44_5:
	s_set_inst_prefetch_distance 0x2
	s_add_u32 s0, s6, s2
	s_addc_u32 s1, s7, 0
	v_add_co_u32 v2, s0, s0, v0
	s_delay_alu instid0(VALU_DEP_1)
	v_add_co_ci_u32_e64 v3, null, s1, 0, s0
	v_lshrrev_b32_e32 v0, 8, v1
	v_lshrrev_b32_e32 v4, 24, v1
	s_clause 0x3
	global_store_b8 v[2:3], v1, off
	global_store_b8 v[2:3], v0, off offset:256
	global_store_d16_hi_b8 v[2:3], v1, off offset:512
	global_store_b8 v[2:3], v4, off offset:768
	s_nop 0
	s_sendmsg sendmsg(MSG_DEALLOC_VGPRS)
	s_endpgm
	.section	.rodata,"a",@progbits
	.p2align	6, 0x0
	.amdhsa_kernel _Z6kernelI13subtract_leftLj256ELj4ELb1EJPaS1_jEEvDpT3_
		.amdhsa_group_segment_fixed_size 512
		.amdhsa_private_segment_fixed_size 0
		.amdhsa_kernarg_size 20
		.amdhsa_user_sgpr_count 15
		.amdhsa_user_sgpr_dispatch_ptr 0
		.amdhsa_user_sgpr_queue_ptr 0
		.amdhsa_user_sgpr_kernarg_segment_ptr 1
		.amdhsa_user_sgpr_dispatch_id 0
		.amdhsa_user_sgpr_private_segment_size 0
		.amdhsa_wavefront_size32 1
		.amdhsa_uses_dynamic_stack 0
		.amdhsa_enable_private_segment 0
		.amdhsa_system_sgpr_workgroup_id_x 1
		.amdhsa_system_sgpr_workgroup_id_y 0
		.amdhsa_system_sgpr_workgroup_id_z 0
		.amdhsa_system_sgpr_workgroup_info 0
		.amdhsa_system_vgpr_workitem_id 0
		.amdhsa_next_free_vgpr 10
		.amdhsa_next_free_sgpr 16
		.amdhsa_reserve_vcc 1
		.amdhsa_float_round_mode_32 0
		.amdhsa_float_round_mode_16_64 0
		.amdhsa_float_denorm_mode_32 3
		.amdhsa_float_denorm_mode_16_64 3
		.amdhsa_dx10_clamp 1
		.amdhsa_ieee_mode 1
		.amdhsa_fp16_overflow 0
		.amdhsa_workgroup_processor_mode 1
		.amdhsa_memory_ordered 1
		.amdhsa_forward_progress 0
		.amdhsa_shared_vgpr_count 0
		.amdhsa_exception_fp_ieee_invalid_op 0
		.amdhsa_exception_fp_denorm_src 0
		.amdhsa_exception_fp_ieee_div_zero 0
		.amdhsa_exception_fp_ieee_overflow 0
		.amdhsa_exception_fp_ieee_underflow 0
		.amdhsa_exception_fp_ieee_inexact 0
		.amdhsa_exception_int_div_zero 0
	.end_amdhsa_kernel
	.section	.text._Z6kernelI13subtract_leftLj256ELj4ELb1EJPaS1_jEEvDpT3_,"axG",@progbits,_Z6kernelI13subtract_leftLj256ELj4ELb1EJPaS1_jEEvDpT3_,comdat
.Lfunc_end44:
	.size	_Z6kernelI13subtract_leftLj256ELj4ELb1EJPaS1_jEEvDpT3_, .Lfunc_end44-_Z6kernelI13subtract_leftLj256ELj4ELb1EJPaS1_jEEvDpT3_
                                        ; -- End function
	.section	.AMDGPU.csdata,"",@progbits
; Kernel info:
; codeLenInByte = 480
; NumSgprs: 18
; NumVgprs: 10
; ScratchSize: 0
; MemoryBound: 0
; FloatMode: 240
; IeeeMode: 1
; LDSByteSize: 512 bytes/workgroup (compile time only)
; SGPRBlocks: 2
; VGPRBlocks: 1
; NumSGPRsForWavesPerEU: 18
; NumVGPRsForWavesPerEU: 10
; Occupancy: 16
; WaveLimiterHint : 1
; COMPUTE_PGM_RSRC2:SCRATCH_EN: 0
; COMPUTE_PGM_RSRC2:USER_SGPR: 15
; COMPUTE_PGM_RSRC2:TRAP_HANDLER: 0
; COMPUTE_PGM_RSRC2:TGID_X_EN: 1
; COMPUTE_PGM_RSRC2:TGID_Y_EN: 0
; COMPUTE_PGM_RSRC2:TGID_Z_EN: 0
; COMPUTE_PGM_RSRC2:TIDIG_COMP_CNT: 0
	.section	.text._Z6kernelI13subtract_leftLj256ELj8ELb1EJPaS1_jEEvDpT3_,"axG",@progbits,_Z6kernelI13subtract_leftLj256ELj8ELb1EJPaS1_jEEvDpT3_,comdat
	.protected	_Z6kernelI13subtract_leftLj256ELj8ELb1EJPaS1_jEEvDpT3_ ; -- Begin function _Z6kernelI13subtract_leftLj256ELj8ELb1EJPaS1_jEEvDpT3_
	.globl	_Z6kernelI13subtract_leftLj256ELj8ELb1EJPaS1_jEEvDpT3_
	.p2align	8
	.type	_Z6kernelI13subtract_leftLj256ELj8ELb1EJPaS1_jEEvDpT3_,@function
_Z6kernelI13subtract_leftLj256ELj8ELb1EJPaS1_jEEvDpT3_: ; @_Z6kernelI13subtract_leftLj256ELj8ELb1EJPaS1_jEEvDpT3_
; %bb.0:
	s_load_b128 s[4:7], s[0:1], 0x0
	s_lshl_b32 s2, s15, 11
	s_load_b32 s0, s[0:1], 0x10
	s_waitcnt lgkmcnt(0)
	s_add_u32 s4, s4, s2
	s_addc_u32 s5, s5, 0
	s_cmp_eq_u32 s0, 0
	s_clause 0x7
	global_load_u8 v1, v0, s[4:5] offset:256
	global_load_u8 v2, v0, s[4:5] offset:768
	;; [unrolled: 1-line block ×4, first 2 shown]
	global_load_u8 v5, v0, s[4:5]
	global_load_u8 v6, v0, s[4:5] offset:512
	global_load_u8 v7, v0, s[4:5] offset:1024
	;; [unrolled: 1-line block ×3, first 2 shown]
	s_waitcnt vmcnt(7)
	v_lshlrev_b16 v1, 8, v1
	s_waitcnt vmcnt(6)
	v_lshlrev_b16 v2, 8, v2
	;; [unrolled: 2-line block ×4, first 2 shown]
	s_waitcnt vmcnt(3)
	v_or_b32_e32 v1, v5, v1
	s_waitcnt vmcnt(2)
	v_or_b32_e32 v2, v6, v2
	;; [unrolled: 2-line block ×4, first 2 shown]
	v_and_b32_e32 v1, 0xffff, v1
	v_lshlrev_b32_e32 v2, 16, v2
	v_and_b32_e32 v3, 0xffff, v3
	s_delay_alu instid0(VALU_DEP_4) | instskip(NEXT) | instid1(VALU_DEP_3)
	v_lshlrev_b32_e32 v4, 16, v4
	v_or_b32_e32 v1, v1, v2
	s_delay_alu instid0(VALU_DEP_2)
	v_or_b32_e32 v2, v3, v4
	s_cbranch_scc1 .LBB45_5
; %bb.1:
	v_cmp_ne_u32_e32 vcc_lo, 0, v0
	v_add_nc_u32_e32 v3, -1, v0
	s_branch .LBB45_3
.LBB45_2:                               ;   in Loop: Header=BB45_3 Depth=1
	s_or_b32 exec_lo, exec_lo, s1
	v_lshrrev_b32_e32 v8, 8, v1
	v_lshrrev_b32_e32 v9, 16, v1
	v_lshrrev_b64 v[6:7], 24, v[1:2]
	v_lshlrev_b16 v7, 1, v1
	v_lshrrev_b32_e32 v12, 16, v2
	v_lshlrev_b16 v10, 1, v8
	v_lshlrev_b16 v11, 1, v9
	v_lshrrev_b32_e32 v13, 8, v2
	s_waitcnt lgkmcnt(0)
	v_sub_nc_u16 v5, v7, v5
	v_lshlrev_b16 v14, 1, v12
	v_sub_nc_u16 v1, v10, v1
	v_sub_nc_u16 v7, v11, v8
	v_lshlrev_b16 v8, 1, v6
	v_lshlrev_b16 v10, 1, v2
	v_lshlrev_b16 v11, 1, v13
	v_lshlrev_b16 v4, 1, v4
	v_and_b32_e32 v7, 0xff, v7
	v_sub_nc_u16 v8, v8, v9
	v_sub_nc_u16 v6, v10, v6
	;; [unrolled: 1-line block ×5, first 2 shown]
	v_lshlrev_b16 v8, 8, v8
	v_and_b32_e32 v5, 0xff, v5
	v_lshlrev_b16 v1, 8, v1
	v_and_b32_e32 v9, 0xff, v9
	;; [unrolled: 2-line block ×3, first 2 shown]
	v_lshlrev_b16 v2, 8, v2
	v_or_b32_e32 v7, v7, v8
	v_or_b32_e32 v1, v5, v1
	;; [unrolled: 1-line block ×3, first 2 shown]
	s_add_i32 s0, s0, -1
	v_or_b32_e32 v2, v6, v2
	v_lshlrev_b32_e32 v5, 16, v7
	v_and_b32_e32 v1, 0xffff, v1
	v_lshlrev_b32_e32 v4, 16, v4
	s_cmp_lg_u32 s0, 0
	v_and_b32_e32 v2, 0xffff, v2
	s_delay_alu instid0(VALU_DEP_3)
	v_or_b32_e32 v1, v1, v5
	s_barrier
	buffer_gl0_inv
	v_or_b32_e32 v2, v2, v4
	s_cbranch_scc0 .LBB45_5
.LBB45_3:                               ; =>This Inner Loop Header: Depth=1
	s_delay_alu instid0(VALU_DEP_1)
	v_lshrrev_b32_e32 v4, 24, v2
	v_mov_b32_e32 v5, 0x7b
	ds_store_b8 v0, v4
	s_waitcnt lgkmcnt(0)
	s_barrier
	buffer_gl0_inv
	s_and_saveexec_b32 s1, vcc_lo
	s_cbranch_execz .LBB45_2
; %bb.4:                                ;   in Loop: Header=BB45_3 Depth=1
	ds_load_u8 v5, v3
	s_branch .LBB45_2
.LBB45_5:
	s_add_u32 s0, s6, s2
	s_addc_u32 s1, s7, 0
	v_add_co_u32 v3, s0, s0, v0
	s_delay_alu instid0(VALU_DEP_1)
	v_add_co_ci_u32_e64 v4, null, s1, 0, s0
	v_lshrrev_b32_e32 v0, 8, v1
	v_lshrrev_b32_e32 v5, 24, v1
	v_lshrrev_b32_e32 v6, 8, v2
	v_lshrrev_b32_e32 v7, 24, v2
	s_clause 0x7
	global_store_b8 v[3:4], v1, off
	global_store_b8 v[3:4], v0, off offset:256
	global_store_d16_hi_b8 v[3:4], v1, off offset:512
	global_store_b8 v[3:4], v5, off offset:768
	global_store_b8 v[3:4], v2, off offset:1024
	;; [unrolled: 1-line block ×3, first 2 shown]
	global_store_d16_hi_b8 v[3:4], v2, off offset:1536
	global_store_b8 v[3:4], v7, off offset:1792
	s_nop 0
	s_sendmsg sendmsg(MSG_DEALLOC_VGPRS)
	s_endpgm
	.section	.rodata,"a",@progbits
	.p2align	6, 0x0
	.amdhsa_kernel _Z6kernelI13subtract_leftLj256ELj8ELb1EJPaS1_jEEvDpT3_
		.amdhsa_group_segment_fixed_size 512
		.amdhsa_private_segment_fixed_size 0
		.amdhsa_kernarg_size 20
		.amdhsa_user_sgpr_count 15
		.amdhsa_user_sgpr_dispatch_ptr 0
		.amdhsa_user_sgpr_queue_ptr 0
		.amdhsa_user_sgpr_kernarg_segment_ptr 1
		.amdhsa_user_sgpr_dispatch_id 0
		.amdhsa_user_sgpr_private_segment_size 0
		.amdhsa_wavefront_size32 1
		.amdhsa_uses_dynamic_stack 0
		.amdhsa_enable_private_segment 0
		.amdhsa_system_sgpr_workgroup_id_x 1
		.amdhsa_system_sgpr_workgroup_id_y 0
		.amdhsa_system_sgpr_workgroup_id_z 0
		.amdhsa_system_sgpr_workgroup_info 0
		.amdhsa_system_vgpr_workitem_id 0
		.amdhsa_next_free_vgpr 15
		.amdhsa_next_free_sgpr 16
		.amdhsa_reserve_vcc 1
		.amdhsa_float_round_mode_32 0
		.amdhsa_float_round_mode_16_64 0
		.amdhsa_float_denorm_mode_32 3
		.amdhsa_float_denorm_mode_16_64 3
		.amdhsa_dx10_clamp 1
		.amdhsa_ieee_mode 1
		.amdhsa_fp16_overflow 0
		.amdhsa_workgroup_processor_mode 1
		.amdhsa_memory_ordered 1
		.amdhsa_forward_progress 0
		.amdhsa_shared_vgpr_count 0
		.amdhsa_exception_fp_ieee_invalid_op 0
		.amdhsa_exception_fp_denorm_src 0
		.amdhsa_exception_fp_ieee_div_zero 0
		.amdhsa_exception_fp_ieee_overflow 0
		.amdhsa_exception_fp_ieee_underflow 0
		.amdhsa_exception_fp_ieee_inexact 0
		.amdhsa_exception_int_div_zero 0
	.end_amdhsa_kernel
	.section	.text._Z6kernelI13subtract_leftLj256ELj8ELb1EJPaS1_jEEvDpT3_,"axG",@progbits,_Z6kernelI13subtract_leftLj256ELj8ELb1EJPaS1_jEEvDpT3_,comdat
.Lfunc_end45:
	.size	_Z6kernelI13subtract_leftLj256ELj8ELb1EJPaS1_jEEvDpT3_, .Lfunc_end45-_Z6kernelI13subtract_leftLj256ELj8ELb1EJPaS1_jEEvDpT3_
                                        ; -- End function
	.section	.AMDGPU.csdata,"",@progbits
; Kernel info:
; codeLenInByte = 724
; NumSgprs: 18
; NumVgprs: 15
; ScratchSize: 0
; MemoryBound: 0
; FloatMode: 240
; IeeeMode: 1
; LDSByteSize: 512 bytes/workgroup (compile time only)
; SGPRBlocks: 2
; VGPRBlocks: 1
; NumSGPRsForWavesPerEU: 18
; NumVGPRsForWavesPerEU: 15
; Occupancy: 16
; WaveLimiterHint : 1
; COMPUTE_PGM_RSRC2:SCRATCH_EN: 0
; COMPUTE_PGM_RSRC2:USER_SGPR: 15
; COMPUTE_PGM_RSRC2:TRAP_HANDLER: 0
; COMPUTE_PGM_RSRC2:TGID_X_EN: 1
; COMPUTE_PGM_RSRC2:TGID_Y_EN: 0
; COMPUTE_PGM_RSRC2:TGID_Z_EN: 0
; COMPUTE_PGM_RSRC2:TIDIG_COMP_CNT: 0
	.section	.text._Z6kernelI13subtract_leftLj256ELj16ELb1EJPaS1_jEEvDpT3_,"axG",@progbits,_Z6kernelI13subtract_leftLj256ELj16ELb1EJPaS1_jEEvDpT3_,comdat
	.protected	_Z6kernelI13subtract_leftLj256ELj16ELb1EJPaS1_jEEvDpT3_ ; -- Begin function _Z6kernelI13subtract_leftLj256ELj16ELb1EJPaS1_jEEvDpT3_
	.globl	_Z6kernelI13subtract_leftLj256ELj16ELb1EJPaS1_jEEvDpT3_
	.p2align	8
	.type	_Z6kernelI13subtract_leftLj256ELj16ELb1EJPaS1_jEEvDpT3_,@function
_Z6kernelI13subtract_leftLj256ELj16ELb1EJPaS1_jEEvDpT3_: ; @_Z6kernelI13subtract_leftLj256ELj16ELb1EJPaS1_jEEvDpT3_
; %bb.0:
	s_load_b128 s[4:7], s[0:1], 0x0
	s_lshl_b32 s2, s15, 12
	s_load_b32 s0, s[0:1], 0x10
	s_waitcnt lgkmcnt(0)
	s_add_u32 s4, s4, s2
	s_addc_u32 s5, s5, 0
	s_cmp_eq_u32 s0, 0
	s_clause 0xf
	global_load_u8 v1, v0, s[4:5] offset:256
	global_load_u8 v2, v0, s[4:5] offset:768
	;; [unrolled: 1-line block ×8, first 2 shown]
	global_load_u8 v9, v0, s[4:5]
	global_load_u8 v10, v0, s[4:5] offset:512
	global_load_u8 v11, v0, s[4:5] offset:1024
	;; [unrolled: 1-line block ×7, first 2 shown]
	s_waitcnt vmcnt(15)
	v_lshlrev_b16 v1, 8, v1
	s_waitcnt vmcnt(14)
	v_lshlrev_b16 v2, 8, v2
	s_waitcnt vmcnt(13)
	v_lshlrev_b16 v3, 8, v3
	s_waitcnt vmcnt(12)
	v_lshlrev_b16 v4, 8, v4
	s_waitcnt vmcnt(11)
	v_lshlrev_b16 v5, 8, v5
	s_waitcnt vmcnt(10)
	v_lshlrev_b16 v6, 8, v6
	s_waitcnt vmcnt(9)
	v_lshlrev_b16 v7, 8, v7
	s_waitcnt vmcnt(8)
	v_lshlrev_b16 v8, 8, v8
	s_waitcnt vmcnt(7)
	v_or_b32_e32 v1, v9, v1
	s_waitcnt vmcnt(6)
	v_or_b32_e32 v2, v10, v2
	;; [unrolled: 2-line block ×8, first 2 shown]
	v_and_b32_e32 v1, 0xffff, v1
	v_lshlrev_b32_e32 v2, 16, v2
	v_and_b32_e32 v9, 0xffff, v3
	v_lshlrev_b32_e32 v4, 16, v4
	;; [unrolled: 2-line block ×4, first 2 shown]
	v_or_b32_e32 v3, v1, v2
	v_or_b32_e32 v4, v9, v4
	;; [unrolled: 1-line block ×3, first 2 shown]
	s_delay_alu instid0(VALU_DEP_4)
	v_or_b32_e32 v2, v7, v8
	s_cbranch_scc1 .LBB46_5
; %bb.1:
	v_cmp_ne_u32_e32 vcc_lo, 0, v0
	v_add_nc_u32_e32 v5, -1, v0
	s_branch .LBB46_3
.LBB46_2:                               ;   in Loop: Header=BB46_3 Depth=1
	s_or_b32 exec_lo, exec_lo, s1
	v_lshrrev_b64 v[8:9], 24, v[1:2]
	v_lshrrev_b64 v[9:10], 24, v[3:4]
	v_lshrrev_b32_e32 v10, 8, v3
	v_lshrrev_b32_e32 v15, 16, v3
	;; [unrolled: 1-line block ×5, first 2 shown]
	v_lshlrev_b16 v19, 1, v10
	v_lshrrev_b32_e32 v17, 16, v4
	v_lshlrev_b16 v18, 1, v3
	v_lshlrev_b16 v20, 1, v15
	;; [unrolled: 1-line block ×3, first 2 shown]
	v_sub_nc_u16 v3, v19, v3
	v_lshlrev_b16 v19, 1, v22
	v_lshrrev_b32_e32 v11, 16, v2
	v_lshrrev_b32_e32 v12, 8, v2
	;; [unrolled: 1-line block ×3, first 2 shown]
	s_waitcnt lgkmcnt(0)
	v_sub_nc_u16 v7, v18, v7
	v_sub_nc_u16 v10, v20, v10
	;; [unrolled: 1-line block ×3, first 2 shown]
	v_lshlrev_b16 v18, 1, v4
	v_lshlrev_b16 v20, 1, v17
	;; [unrolled: 1-line block ×4, first 2 shown]
	v_sub_nc_u16 v4, v19, v4
	v_lshlrev_b16 v19, 1, v14
	v_sub_nc_u16 v9, v18, v9
	v_sub_nc_u16 v18, v20, v22
	;; [unrolled: 1-line block ×4, first 2 shown]
	v_lshlrev_b16 v20, 1, v13
	v_lshlrev_b16 v21, 1, v8
	;; [unrolled: 1-line block ×4, first 2 shown]
	v_sub_nc_u16 v1, v19, v1
	v_lshlrev_b16 v19, 1, v11
	v_lshlrev_b16 v6, 1, v6
	v_sub_nc_u16 v14, v20, v14
	v_sub_nc_u16 v13, v21, v13
	;; [unrolled: 1-line block ×6, first 2 shown]
	v_and_b32_e32 v10, 0xff, v10
	v_lshlrev_b16 v15, 8, v15
	v_and_b32_e32 v7, 0xff, v7
	v_lshlrev_b16 v3, 8, v3
	v_lshlrev_b16 v17, 8, v17
	v_and_b32_e32 v18, 0xff, v18
	v_and_b32_e32 v9, 0xff, v9
	v_lshlrev_b16 v4, 8, v4
	v_and_b32_e32 v11, 0xff, v14
	v_lshlrev_b16 v13, 8, v13
	;; [unrolled: 2-line block ×3, first 2 shown]
	v_lshlrev_b16 v6, 8, v6
	v_and_b32_e32 v12, 0xff, v12
	v_and_b32_e32 v8, 0xff, v8
	v_lshlrev_b16 v2, 8, v2
	v_or_b32_e32 v10, v10, v15
	v_or_b32_e32 v3, v7, v3
	;; [unrolled: 1-line block ×8, first 2 shown]
	v_lshlrev_b32_e32 v10, 16, v10
	v_and_b32_e32 v3, 0xffff, v3
	v_lshlrev_b32_e32 v7, 16, v7
	v_and_b32_e32 v4, 0xffff, v4
	;; [unrolled: 2-line block ×4, first 2 shown]
	v_or_b32_e32 v3, v3, v10
	v_or_b32_e32 v4, v4, v7
	;; [unrolled: 1-line block ×3, first 2 shown]
	s_add_i32 s0, s0, -1
	v_or_b32_e32 v2, v2, v6
	s_cmp_lg_u32 s0, 0
	s_barrier
	buffer_gl0_inv
	s_cbranch_scc0 .LBB46_5
.LBB46_3:                               ; =>This Inner Loop Header: Depth=1
	v_lshrrev_b32_e32 v6, 24, v2
	v_mov_b32_e32 v7, 0x7b
	ds_store_b8 v0, v6
	s_waitcnt lgkmcnt(0)
	s_barrier
	buffer_gl0_inv
	s_and_saveexec_b32 s1, vcc_lo
	s_cbranch_execz .LBB46_2
; %bb.4:                                ;   in Loop: Header=BB46_3 Depth=1
	ds_load_u8 v7, v5
	s_branch .LBB46_2
.LBB46_5:
	s_add_u32 s0, s6, s2
	s_addc_u32 s1, s7, 0
	v_add_co_u32 v5, s0, s0, v0
	s_delay_alu instid0(VALU_DEP_1)
	v_add_co_ci_u32_e64 v6, null, s1, 0, s0
	v_lshrrev_b32_e32 v0, 8, v3
	v_lshrrev_b32_e32 v7, 24, v3
	;; [unrolled: 1-line block ×4, first 2 shown]
	s_clause 0x7
	global_store_b8 v[5:6], v3, off
	global_store_b8 v[5:6], v0, off offset:256
	global_store_d16_hi_b8 v[5:6], v3, off offset:512
	global_store_b8 v[5:6], v7, off offset:768
	global_store_b8 v[5:6], v4, off offset:1024
	;; [unrolled: 1-line block ×3, first 2 shown]
	global_store_d16_hi_b8 v[5:6], v4, off offset:1536
	global_store_b8 v[5:6], v9, off offset:1792
	v_lshrrev_b32_e32 v0, 8, v1
	v_lshrrev_b32_e32 v3, 24, v1
	;; [unrolled: 1-line block ×4, first 2 shown]
	s_clause 0x7
	global_store_b8 v[5:6], v1, off offset:2048
	global_store_b8 v[5:6], v0, off offset:2304
	global_store_d16_hi_b8 v[5:6], v1, off offset:2560
	global_store_b8 v[5:6], v3, off offset:2816
	global_store_b8 v[5:6], v2, off offset:3072
	;; [unrolled: 1-line block ×3, first 2 shown]
	global_store_d16_hi_b8 v[5:6], v2, off offset:3584
	global_store_b8 v[5:6], v7, off offset:3840
	s_nop 0
	s_sendmsg sendmsg(MSG_DEALLOC_VGPRS)
	s_endpgm
	.section	.rodata,"a",@progbits
	.p2align	6, 0x0
	.amdhsa_kernel _Z6kernelI13subtract_leftLj256ELj16ELb1EJPaS1_jEEvDpT3_
		.amdhsa_group_segment_fixed_size 512
		.amdhsa_private_segment_fixed_size 0
		.amdhsa_kernarg_size 20
		.amdhsa_user_sgpr_count 15
		.amdhsa_user_sgpr_dispatch_ptr 0
		.amdhsa_user_sgpr_queue_ptr 0
		.amdhsa_user_sgpr_kernarg_segment_ptr 1
		.amdhsa_user_sgpr_dispatch_id 0
		.amdhsa_user_sgpr_private_segment_size 0
		.amdhsa_wavefront_size32 1
		.amdhsa_uses_dynamic_stack 0
		.amdhsa_enable_private_segment 0
		.amdhsa_system_sgpr_workgroup_id_x 1
		.amdhsa_system_sgpr_workgroup_id_y 0
		.amdhsa_system_sgpr_workgroup_id_z 0
		.amdhsa_system_sgpr_workgroup_info 0
		.amdhsa_system_vgpr_workitem_id 0
		.amdhsa_next_free_vgpr 24
		.amdhsa_next_free_sgpr 16
		.amdhsa_reserve_vcc 1
		.amdhsa_float_round_mode_32 0
		.amdhsa_float_round_mode_16_64 0
		.amdhsa_float_denorm_mode_32 3
		.amdhsa_float_denorm_mode_16_64 3
		.amdhsa_dx10_clamp 1
		.amdhsa_ieee_mode 1
		.amdhsa_fp16_overflow 0
		.amdhsa_workgroup_processor_mode 1
		.amdhsa_memory_ordered 1
		.amdhsa_forward_progress 0
		.amdhsa_shared_vgpr_count 0
		.amdhsa_exception_fp_ieee_invalid_op 0
		.amdhsa_exception_fp_denorm_src 0
		.amdhsa_exception_fp_ieee_div_zero 0
		.amdhsa_exception_fp_ieee_overflow 0
		.amdhsa_exception_fp_ieee_underflow 0
		.amdhsa_exception_fp_ieee_inexact 0
		.amdhsa_exception_int_div_zero 0
	.end_amdhsa_kernel
	.section	.text._Z6kernelI13subtract_leftLj256ELj16ELb1EJPaS1_jEEvDpT3_,"axG",@progbits,_Z6kernelI13subtract_leftLj256ELj16ELb1EJPaS1_jEEvDpT3_,comdat
.Lfunc_end46:
	.size	_Z6kernelI13subtract_leftLj256ELj16ELb1EJPaS1_jEEvDpT3_, .Lfunc_end46-_Z6kernelI13subtract_leftLj256ELj16ELb1EJPaS1_jEEvDpT3_
                                        ; -- End function
	.section	.AMDGPU.csdata,"",@progbits
; Kernel info:
; codeLenInByte = 1240
; NumSgprs: 18
; NumVgprs: 24
; ScratchSize: 0
; MemoryBound: 0
; FloatMode: 240
; IeeeMode: 1
; LDSByteSize: 512 bytes/workgroup (compile time only)
; SGPRBlocks: 2
; VGPRBlocks: 2
; NumSGPRsForWavesPerEU: 18
; NumVGPRsForWavesPerEU: 24
; Occupancy: 16
; WaveLimiterHint : 1
; COMPUTE_PGM_RSRC2:SCRATCH_EN: 0
; COMPUTE_PGM_RSRC2:USER_SGPR: 15
; COMPUTE_PGM_RSRC2:TRAP_HANDLER: 0
; COMPUTE_PGM_RSRC2:TGID_X_EN: 1
; COMPUTE_PGM_RSRC2:TGID_Y_EN: 0
; COMPUTE_PGM_RSRC2:TGID_Z_EN: 0
; COMPUTE_PGM_RSRC2:TIDIG_COMP_CNT: 0
	.section	.text._Z6kernelI13subtract_leftLj256ELj32ELb1EJPaS1_jEEvDpT3_,"axG",@progbits,_Z6kernelI13subtract_leftLj256ELj32ELb1EJPaS1_jEEvDpT3_,comdat
	.protected	_Z6kernelI13subtract_leftLj256ELj32ELb1EJPaS1_jEEvDpT3_ ; -- Begin function _Z6kernelI13subtract_leftLj256ELj32ELb1EJPaS1_jEEvDpT3_
	.globl	_Z6kernelI13subtract_leftLj256ELj32ELb1EJPaS1_jEEvDpT3_
	.p2align	8
	.type	_Z6kernelI13subtract_leftLj256ELj32ELb1EJPaS1_jEEvDpT3_,@function
_Z6kernelI13subtract_leftLj256ELj32ELb1EJPaS1_jEEvDpT3_: ; @_Z6kernelI13subtract_leftLj256ELj32ELb1EJPaS1_jEEvDpT3_
; %bb.0:
	s_load_b128 s[4:7], s[0:1], 0x0
	s_lshl_b32 s2, s15, 13
	s_load_b32 s0, s[0:1], 0x10
	s_waitcnt lgkmcnt(0)
	s_add_u32 s4, s4, s2
	s_addc_u32 s5, s5, 0
	v_add_co_u32 v1, s1, s4, v0
	s_delay_alu instid0(VALU_DEP_1)
	v_add_co_ci_u32_e64 v2, null, s5, 0, s1
	s_clause 0x7
	global_load_u8 v32, v0, s[4:5]
	global_load_u8 v31, v0, s[4:5] offset:256
	global_load_u8 v30, v0, s[4:5] offset:512
	;; [unrolled: 1-line block ×7, first 2 shown]
	v_add_co_u32 v33, vcc_lo, 0x1000, v1
	v_add_co_ci_u32_e32 v34, vcc_lo, 0, v2, vcc_lo
	s_clause 0x17
	global_load_u8 v24, v0, s[4:5] offset:2048
	global_load_u8 v23, v0, s[4:5] offset:2304
	;; [unrolled: 1-line block ×8, first 2 shown]
	global_load_u8 v16, v[33:34], off
	global_load_u8 v15, v[33:34], off offset:256
	global_load_u8 v14, v[33:34], off offset:512
	;; [unrolled: 1-line block ×15, first 2 shown]
	s_cmp_eq_u32 s0, 0
	s_cbranch_scc1 .LBB47_5
; %bb.1:
	v_cmp_ne_u32_e32 vcc_lo, 0, v0
	v_add_nc_u32_e32 v33, -1, v0
	s_branch .LBB47_3
.LBB47_2:                               ;   in Loop: Header=BB47_3 Depth=1
	s_or_b32 exec_lo, exec_lo, s1
	v_sub_nc_u16 v35, v1, v2
	v_sub_nc_u16 v36, v2, v3
	;; [unrolled: 1-line block ×27, first 2 shown]
	s_waitcnt lgkmcnt(0)
	v_sub_nc_u16 v34, v32, v34
	v_sub_nc_u16 v62, v31, v32
	;; [unrolled: 1-line block ×5, first 2 shown]
	v_add_nc_u16 v32, v34, v32
	v_add_nc_u16 v31, v62, v31
	;; [unrolled: 1-line block ×32, first 2 shown]
	s_add_i32 s0, s0, -1
	s_delay_alu instid0(SALU_CYCLE_1)
	s_cmp_lg_u32 s0, 0
	s_barrier
	buffer_gl0_inv
	s_cbranch_scc0 .LBB47_5
.LBB47_3:                               ; =>This Inner Loop Header: Depth=1
	v_mov_b32_e32 v34, 0x7b
	s_waitcnt vmcnt(0)
	ds_store_b8 v0, v1
	s_waitcnt lgkmcnt(0)
	s_barrier
	buffer_gl0_inv
	s_and_saveexec_b32 s1, vcc_lo
	s_cbranch_execz .LBB47_2
; %bb.4:                                ;   in Loop: Header=BB47_3 Depth=1
	ds_load_u8 v34, v33
	s_branch .LBB47_2
.LBB47_5:
	s_add_u32 s0, s6, s2
	s_addc_u32 s1, s7, 0
	v_add_co_u32 v33, s0, s0, v0
	s_delay_alu instid0(VALU_DEP_1)
	v_add_co_ci_u32_e64 v34, null, s1, 0, s0
	s_waitcnt vmcnt(31)
	global_store_b8 v[33:34], v32, off
	s_waitcnt vmcnt(30)
	global_store_b8 v[33:34], v31, off offset:256
	s_waitcnt vmcnt(29)
	global_store_b8 v[33:34], v30, off offset:512
	;; [unrolled: 2-line block ×7, first 2 shown]
	v_add_co_u32 v25, vcc_lo, 0x1000, v33
	v_add_co_ci_u32_e32 v26, vcc_lo, 0, v34, vcc_lo
	s_waitcnt vmcnt(23)
	global_store_b8 v[33:34], v24, off offset:2048
	s_waitcnt vmcnt(22)
	global_store_b8 v[33:34], v23, off offset:2304
	;; [unrolled: 2-line block ×8, first 2 shown]
	s_waitcnt vmcnt(15)
	global_store_b8 v[25:26], v16, off
	s_waitcnt vmcnt(14)
	global_store_b8 v[25:26], v15, off offset:256
	s_waitcnt vmcnt(13)
	global_store_b8 v[25:26], v14, off offset:512
	;; [unrolled: 2-line block ×15, first 2 shown]
	s_nop 0
	s_sendmsg sendmsg(MSG_DEALLOC_VGPRS)
	s_endpgm
	.section	.rodata,"a",@progbits
	.p2align	6, 0x0
	.amdhsa_kernel _Z6kernelI13subtract_leftLj256ELj32ELb1EJPaS1_jEEvDpT3_
		.amdhsa_group_segment_fixed_size 512
		.amdhsa_private_segment_fixed_size 0
		.amdhsa_kernarg_size 20
		.amdhsa_user_sgpr_count 15
		.amdhsa_user_sgpr_dispatch_ptr 0
		.amdhsa_user_sgpr_queue_ptr 0
		.amdhsa_user_sgpr_kernarg_segment_ptr 1
		.amdhsa_user_sgpr_dispatch_id 0
		.amdhsa_user_sgpr_private_segment_size 0
		.amdhsa_wavefront_size32 1
		.amdhsa_uses_dynamic_stack 0
		.amdhsa_enable_private_segment 0
		.amdhsa_system_sgpr_workgroup_id_x 1
		.amdhsa_system_sgpr_workgroup_id_y 0
		.amdhsa_system_sgpr_workgroup_id_z 0
		.amdhsa_system_sgpr_workgroup_info 0
		.amdhsa_system_vgpr_workitem_id 0
		.amdhsa_next_free_vgpr 66
		.amdhsa_next_free_sgpr 16
		.amdhsa_reserve_vcc 1
		.amdhsa_float_round_mode_32 0
		.amdhsa_float_round_mode_16_64 0
		.amdhsa_float_denorm_mode_32 3
		.amdhsa_float_denorm_mode_16_64 3
		.amdhsa_dx10_clamp 1
		.amdhsa_ieee_mode 1
		.amdhsa_fp16_overflow 0
		.amdhsa_workgroup_processor_mode 1
		.amdhsa_memory_ordered 1
		.amdhsa_forward_progress 0
		.amdhsa_shared_vgpr_count 0
		.amdhsa_exception_fp_ieee_invalid_op 0
		.amdhsa_exception_fp_denorm_src 0
		.amdhsa_exception_fp_ieee_div_zero 0
		.amdhsa_exception_fp_ieee_overflow 0
		.amdhsa_exception_fp_ieee_underflow 0
		.amdhsa_exception_fp_ieee_inexact 0
		.amdhsa_exception_int_div_zero 0
	.end_amdhsa_kernel
	.section	.text._Z6kernelI13subtract_leftLj256ELj32ELb1EJPaS1_jEEvDpT3_,"axG",@progbits,_Z6kernelI13subtract_leftLj256ELj32ELb1EJPaS1_jEEvDpT3_,comdat
.Lfunc_end47:
	.size	_Z6kernelI13subtract_leftLj256ELj32ELb1EJPaS1_jEEvDpT3_, .Lfunc_end47-_Z6kernelI13subtract_leftLj256ELj32ELb1EJPaS1_jEEvDpT3_
                                        ; -- End function
	.section	.AMDGPU.csdata,"",@progbits
; Kernel info:
; codeLenInByte = 1396
; NumSgprs: 18
; NumVgprs: 66
; ScratchSize: 0
; MemoryBound: 0
; FloatMode: 240
; IeeeMode: 1
; LDSByteSize: 512 bytes/workgroup (compile time only)
; SGPRBlocks: 2
; VGPRBlocks: 8
; NumSGPRsForWavesPerEU: 18
; NumVGPRsForWavesPerEU: 66
; Occupancy: 16
; WaveLimiterHint : 1
; COMPUTE_PGM_RSRC2:SCRATCH_EN: 0
; COMPUTE_PGM_RSRC2:USER_SGPR: 15
; COMPUTE_PGM_RSRC2:TRAP_HANDLER: 0
; COMPUTE_PGM_RSRC2:TGID_X_EN: 1
; COMPUTE_PGM_RSRC2:TGID_Y_EN: 0
; COMPUTE_PGM_RSRC2:TGID_Z_EN: 0
; COMPUTE_PGM_RSRC2:TIDIG_COMP_CNT: 0
	.section	.text._Z6kernelI13subtract_leftLj256ELj1ELb1EJPxS1_jEEvDpT3_,"axG",@progbits,_Z6kernelI13subtract_leftLj256ELj1ELb1EJPxS1_jEEvDpT3_,comdat
	.protected	_Z6kernelI13subtract_leftLj256ELj1ELb1EJPxS1_jEEvDpT3_ ; -- Begin function _Z6kernelI13subtract_leftLj256ELj1ELb1EJPxS1_jEEvDpT3_
	.globl	_Z6kernelI13subtract_leftLj256ELj1ELb1EJPxS1_jEEvDpT3_
	.p2align	8
	.type	_Z6kernelI13subtract_leftLj256ELj1ELb1EJPxS1_jEEvDpT3_,@function
_Z6kernelI13subtract_leftLj256ELj1ELb1EJPxS1_jEEvDpT3_: ; @_Z6kernelI13subtract_leftLj256ELj1ELb1EJPxS1_jEEvDpT3_
; %bb.0:
	s_load_b128 s[4:7], s[0:1], 0x0
	s_lshl_b32 s2, s15, 8
	s_mov_b32 s3, 0
	v_lshlrev_b32_e32 v5, 3, v0
	s_lshl_b64 s[2:3], s[2:3], 3
	s_load_b32 s1, s[0:1], 0x10
	s_waitcnt lgkmcnt(0)
	s_add_u32 s4, s4, s2
	s_addc_u32 s5, s5, s3
	global_load_b64 v[1:2], v5, s[4:5]
	s_cmp_eq_u32 s1, 0
	s_cbranch_scc1 .LBB48_5
; %bb.1:
	v_cmp_ne_u32_e32 vcc_lo, 0, v0
	v_add_nc_u32_e32 v0, -8, v5
	s_branch .LBB48_3
	.p2align	6
.LBB48_2:                               ;   in Loop: Header=BB48_3 Depth=1
	s_or_b32 exec_lo, exec_lo, s0
	v_lshlrev_b64 v[1:2], 1, v[1:2]
	s_add_i32 s1, s1, -1
	s_waitcnt lgkmcnt(0)
	s_cmp_lg_u32 s1, 0
	s_barrier
	buffer_gl0_inv
	v_sub_co_u32 v1, s0, v1, v3
	s_delay_alu instid0(VALU_DEP_1)
	v_sub_co_ci_u32_e64 v2, s0, v2, v4, s0
	s_cbranch_scc0 .LBB48_5
.LBB48_3:                               ; =>This Inner Loop Header: Depth=1
	v_mov_b32_e32 v3, 0x7b
	v_mov_b32_e32 v4, 0
	s_waitcnt vmcnt(0)
	ds_store_b64 v5, v[1:2]
	s_waitcnt lgkmcnt(0)
	s_barrier
	buffer_gl0_inv
	s_and_saveexec_b32 s0, vcc_lo
	s_cbranch_execz .LBB48_2
; %bb.4:                                ;   in Loop: Header=BB48_3 Depth=1
	ds_load_b64 v[3:4], v0
	s_branch .LBB48_2
.LBB48_5:
	s_add_u32 s0, s6, s2
	s_addc_u32 s1, s7, s3
	s_waitcnt vmcnt(0)
	global_store_b64 v5, v[1:2], s[0:1]
	s_nop 0
	s_sendmsg sendmsg(MSG_DEALLOC_VGPRS)
	s_endpgm
	.section	.rodata,"a",@progbits
	.p2align	6, 0x0
	.amdhsa_kernel _Z6kernelI13subtract_leftLj256ELj1ELb1EJPxS1_jEEvDpT3_
		.amdhsa_group_segment_fixed_size 4096
		.amdhsa_private_segment_fixed_size 0
		.amdhsa_kernarg_size 20
		.amdhsa_user_sgpr_count 15
		.amdhsa_user_sgpr_dispatch_ptr 0
		.amdhsa_user_sgpr_queue_ptr 0
		.amdhsa_user_sgpr_kernarg_segment_ptr 1
		.amdhsa_user_sgpr_dispatch_id 0
		.amdhsa_user_sgpr_private_segment_size 0
		.amdhsa_wavefront_size32 1
		.amdhsa_uses_dynamic_stack 0
		.amdhsa_enable_private_segment 0
		.amdhsa_system_sgpr_workgroup_id_x 1
		.amdhsa_system_sgpr_workgroup_id_y 0
		.amdhsa_system_sgpr_workgroup_id_z 0
		.amdhsa_system_sgpr_workgroup_info 0
		.amdhsa_system_vgpr_workitem_id 0
		.amdhsa_next_free_vgpr 6
		.amdhsa_next_free_sgpr 16
		.amdhsa_reserve_vcc 1
		.amdhsa_float_round_mode_32 0
		.amdhsa_float_round_mode_16_64 0
		.amdhsa_float_denorm_mode_32 3
		.amdhsa_float_denorm_mode_16_64 3
		.amdhsa_dx10_clamp 1
		.amdhsa_ieee_mode 1
		.amdhsa_fp16_overflow 0
		.amdhsa_workgroup_processor_mode 1
		.amdhsa_memory_ordered 1
		.amdhsa_forward_progress 0
		.amdhsa_shared_vgpr_count 0
		.amdhsa_exception_fp_ieee_invalid_op 0
		.amdhsa_exception_fp_denorm_src 0
		.amdhsa_exception_fp_ieee_div_zero 0
		.amdhsa_exception_fp_ieee_overflow 0
		.amdhsa_exception_fp_ieee_underflow 0
		.amdhsa_exception_fp_ieee_inexact 0
		.amdhsa_exception_int_div_zero 0
	.end_amdhsa_kernel
	.section	.text._Z6kernelI13subtract_leftLj256ELj1ELb1EJPxS1_jEEvDpT3_,"axG",@progbits,_Z6kernelI13subtract_leftLj256ELj1ELb1EJPxS1_jEEvDpT3_,comdat
.Lfunc_end48:
	.size	_Z6kernelI13subtract_leftLj256ELj1ELb1EJPxS1_jEEvDpT3_, .Lfunc_end48-_Z6kernelI13subtract_leftLj256ELj1ELb1EJPxS1_jEEvDpT3_
                                        ; -- End function
	.section	.AMDGPU.csdata,"",@progbits
; Kernel info:
; codeLenInByte = 224
; NumSgprs: 18
; NumVgprs: 6
; ScratchSize: 0
; MemoryBound: 0
; FloatMode: 240
; IeeeMode: 1
; LDSByteSize: 4096 bytes/workgroup (compile time only)
; SGPRBlocks: 2
; VGPRBlocks: 0
; NumSGPRsForWavesPerEU: 18
; NumVGPRsForWavesPerEU: 6
; Occupancy: 16
; WaveLimiterHint : 0
; COMPUTE_PGM_RSRC2:SCRATCH_EN: 0
; COMPUTE_PGM_RSRC2:USER_SGPR: 15
; COMPUTE_PGM_RSRC2:TRAP_HANDLER: 0
; COMPUTE_PGM_RSRC2:TGID_X_EN: 1
; COMPUTE_PGM_RSRC2:TGID_Y_EN: 0
; COMPUTE_PGM_RSRC2:TGID_Z_EN: 0
; COMPUTE_PGM_RSRC2:TIDIG_COMP_CNT: 0
	.section	.text._Z6kernelI13subtract_leftLj256ELj3ELb1EJPxS1_jEEvDpT3_,"axG",@progbits,_Z6kernelI13subtract_leftLj256ELj3ELb1EJPxS1_jEEvDpT3_,comdat
	.protected	_Z6kernelI13subtract_leftLj256ELj3ELb1EJPxS1_jEEvDpT3_ ; -- Begin function _Z6kernelI13subtract_leftLj256ELj3ELb1EJPxS1_jEEvDpT3_
	.globl	_Z6kernelI13subtract_leftLj256ELj3ELb1EJPxS1_jEEvDpT3_
	.p2align	8
	.type	_Z6kernelI13subtract_leftLj256ELj3ELb1EJPxS1_jEEvDpT3_,@function
_Z6kernelI13subtract_leftLj256ELj3ELb1EJPxS1_jEEvDpT3_: ; @_Z6kernelI13subtract_leftLj256ELj3ELb1EJPxS1_jEEvDpT3_
; %bb.0:
	s_load_b128 s[4:7], s[0:1], 0x0
	s_mov_b32 s3, 0
	s_mul_i32 s2, s15, 0x300
	v_lshlrev_b32_e32 v11, 3, v0
	s_lshl_b64 s[2:3], s[2:3], 3
	s_load_b32 s1, s[0:1], 0x10
	s_waitcnt lgkmcnt(0)
	s_add_u32 s4, s4, s2
	s_addc_u32 s5, s5, s3
	v_add_co_u32 v1, s0, s4, v11
	s_delay_alu instid0(VALU_DEP_1) | instskip(SKIP_1) | instid1(VALU_DEP_2)
	v_add_co_ci_u32_e64 v2, null, s5, 0, s0
	s_cmp_eq_u32 s1, 0
	v_add_co_u32 v1, vcc_lo, 0x1000, v1
	s_delay_alu instid0(VALU_DEP_2)
	v_add_co_ci_u32_e32 v2, vcc_lo, 0, v2, vcc_lo
	s_clause 0x2
	global_load_b64 v[3:4], v11, s[4:5]
	global_load_b64 v[5:6], v11, s[4:5] offset:2048
	global_load_b64 v[1:2], v[1:2], off
	s_cbranch_scc1 .LBB49_6
; %bb.1:
	v_cmp_ne_u32_e32 vcc_lo, 0, v0
	v_add_nc_u32_e32 v0, -8, v11
	s_set_inst_prefetch_distance 0x1
	.p2align	6
.LBB49_2:                               ; =>This Inner Loop Header: Depth=1
	v_mov_b32_e32 v7, 0x7b
	v_mov_b32_e32 v8, 0
	s_waitcnt vmcnt(0)
	ds_store_b64 v11, v[1:2]
	s_waitcnt lgkmcnt(0)
	s_barrier
	buffer_gl0_inv
	s_and_saveexec_b32 s0, vcc_lo
	s_cbranch_execz .LBB49_4
; %bb.3:                                ;   in Loop: Header=BB49_2 Depth=1
	ds_load_b64 v[7:8], v0
.LBB49_4:                               ;   in Loop: Header=BB49_2 Depth=1
	s_or_b32 exec_lo, exec_lo, s0
	v_lshlrev_b64 v[9:10], 1, v[3:4]
	v_lshlrev_b64 v[12:13], 1, v[5:6]
	;; [unrolled: 1-line block ×3, first 2 shown]
	s_add_i32 s1, s1, -1
	s_waitcnt lgkmcnt(0)
	s_cmp_lg_u32 s1, 0
	v_sub_co_u32 v9, s0, v9, v7
	s_delay_alu instid0(VALU_DEP_1) | instskip(SKIP_1) | instid1(VALU_DEP_1)
	v_sub_co_ci_u32_e64 v10, s0, v10, v8, s0
	v_sub_co_u32 v7, s0, v12, v3
	v_sub_co_ci_u32_e64 v8, s0, v13, v4, s0
	v_sub_co_u32 v1, s0, v1, v5
	s_delay_alu instid0(VALU_DEP_1)
	v_sub_co_ci_u32_e64 v2, s0, v2, v6, s0
	s_barrier
	buffer_gl0_inv
	s_cbranch_scc0 .LBB49_7
; %bb.5:                                ;   in Loop: Header=BB49_2 Depth=1
	v_dual_mov_b32 v3, v9 :: v_dual_mov_b32 v4, v10
	v_dual_mov_b32 v5, v7 :: v_dual_mov_b32 v6, v8
	s_branch .LBB49_2
.LBB49_6:
	s_waitcnt vmcnt(1)
	v_dual_mov_b32 v8, v6 :: v_dual_mov_b32 v7, v5
	v_dual_mov_b32 v10, v4 :: v_dual_mov_b32 v9, v3
.LBB49_7:
	s_set_inst_prefetch_distance 0x2
	s_add_u32 s0, s6, s2
	s_addc_u32 s1, s7, s3
	v_add_co_u32 v0, s2, s0, v11
	s_delay_alu instid0(VALU_DEP_1) | instskip(NEXT) | instid1(VALU_DEP_2)
	v_add_co_ci_u32_e64 v4, null, s1, 0, s2
	v_add_co_u32 v3, vcc_lo, 0x1000, v0
	s_delay_alu instid0(VALU_DEP_2)
	v_add_co_ci_u32_e32 v4, vcc_lo, 0, v4, vcc_lo
	s_clause 0x1
	global_store_b64 v11, v[9:10], s[0:1]
	global_store_b64 v11, v[7:8], s[0:1] offset:2048
	s_waitcnt vmcnt(0)
	global_store_b64 v[3:4], v[1:2], off
	s_nop 0
	s_sendmsg sendmsg(MSG_DEALLOC_VGPRS)
	s_endpgm
	.section	.rodata,"a",@progbits
	.p2align	6, 0x0
	.amdhsa_kernel _Z6kernelI13subtract_leftLj256ELj3ELb1EJPxS1_jEEvDpT3_
		.amdhsa_group_segment_fixed_size 4096
		.amdhsa_private_segment_fixed_size 0
		.amdhsa_kernarg_size 20
		.amdhsa_user_sgpr_count 15
		.amdhsa_user_sgpr_dispatch_ptr 0
		.amdhsa_user_sgpr_queue_ptr 0
		.amdhsa_user_sgpr_kernarg_segment_ptr 1
		.amdhsa_user_sgpr_dispatch_id 0
		.amdhsa_user_sgpr_private_segment_size 0
		.amdhsa_wavefront_size32 1
		.amdhsa_uses_dynamic_stack 0
		.amdhsa_enable_private_segment 0
		.amdhsa_system_sgpr_workgroup_id_x 1
		.amdhsa_system_sgpr_workgroup_id_y 0
		.amdhsa_system_sgpr_workgroup_id_z 0
		.amdhsa_system_sgpr_workgroup_info 0
		.amdhsa_system_vgpr_workitem_id 0
		.amdhsa_next_free_vgpr 14
		.amdhsa_next_free_sgpr 16
		.amdhsa_reserve_vcc 1
		.amdhsa_float_round_mode_32 0
		.amdhsa_float_round_mode_16_64 0
		.amdhsa_float_denorm_mode_32 3
		.amdhsa_float_denorm_mode_16_64 3
		.amdhsa_dx10_clamp 1
		.amdhsa_ieee_mode 1
		.amdhsa_fp16_overflow 0
		.amdhsa_workgroup_processor_mode 1
		.amdhsa_memory_ordered 1
		.amdhsa_forward_progress 0
		.amdhsa_shared_vgpr_count 0
		.amdhsa_exception_fp_ieee_invalid_op 0
		.amdhsa_exception_fp_denorm_src 0
		.amdhsa_exception_fp_ieee_div_zero 0
		.amdhsa_exception_fp_ieee_overflow 0
		.amdhsa_exception_fp_ieee_underflow 0
		.amdhsa_exception_fp_ieee_inexact 0
		.amdhsa_exception_int_div_zero 0
	.end_amdhsa_kernel
	.section	.text._Z6kernelI13subtract_leftLj256ELj3ELb1EJPxS1_jEEvDpT3_,"axG",@progbits,_Z6kernelI13subtract_leftLj256ELj3ELb1EJPxS1_jEEvDpT3_,comdat
.Lfunc_end49:
	.size	_Z6kernelI13subtract_leftLj256ELj3ELb1EJPxS1_jEEvDpT3_, .Lfunc_end49-_Z6kernelI13subtract_leftLj256ELj3ELb1EJPxS1_jEEvDpT3_
                                        ; -- End function
	.section	.AMDGPU.csdata,"",@progbits
; Kernel info:
; codeLenInByte = 440
; NumSgprs: 18
; NumVgprs: 14
; ScratchSize: 0
; MemoryBound: 0
; FloatMode: 240
; IeeeMode: 1
; LDSByteSize: 4096 bytes/workgroup (compile time only)
; SGPRBlocks: 2
; VGPRBlocks: 1
; NumSGPRsForWavesPerEU: 18
; NumVGPRsForWavesPerEU: 14
; Occupancy: 16
; WaveLimiterHint : 1
; COMPUTE_PGM_RSRC2:SCRATCH_EN: 0
; COMPUTE_PGM_RSRC2:USER_SGPR: 15
; COMPUTE_PGM_RSRC2:TRAP_HANDLER: 0
; COMPUTE_PGM_RSRC2:TGID_X_EN: 1
; COMPUTE_PGM_RSRC2:TGID_Y_EN: 0
; COMPUTE_PGM_RSRC2:TGID_Z_EN: 0
; COMPUTE_PGM_RSRC2:TIDIG_COMP_CNT: 0
	.section	.text._Z6kernelI13subtract_leftLj256ELj4ELb1EJPxS1_jEEvDpT3_,"axG",@progbits,_Z6kernelI13subtract_leftLj256ELj4ELb1EJPxS1_jEEvDpT3_,comdat
	.protected	_Z6kernelI13subtract_leftLj256ELj4ELb1EJPxS1_jEEvDpT3_ ; -- Begin function _Z6kernelI13subtract_leftLj256ELj4ELb1EJPxS1_jEEvDpT3_
	.globl	_Z6kernelI13subtract_leftLj256ELj4ELb1EJPxS1_jEEvDpT3_
	.p2align	8
	.type	_Z6kernelI13subtract_leftLj256ELj4ELb1EJPxS1_jEEvDpT3_,@function
_Z6kernelI13subtract_leftLj256ELj4ELb1EJPxS1_jEEvDpT3_: ; @_Z6kernelI13subtract_leftLj256ELj4ELb1EJPxS1_jEEvDpT3_
; %bb.0:
	s_load_b128 s[4:7], s[0:1], 0x0
	s_mov_b32 s3, 0
	s_lshl_b32 s2, s15, 10
	v_lshlrev_b32_e32 v15, 3, v0
	s_lshl_b64 s[2:3], s[2:3], 3
	s_load_b32 s1, s[0:1], 0x10
	s_waitcnt lgkmcnt(0)
	s_add_u32 s4, s4, s2
	s_addc_u32 s5, s5, s3
	v_add_co_u32 v1, s0, s4, v15
	s_delay_alu instid0(VALU_DEP_1) | instskip(SKIP_1) | instid1(VALU_DEP_2)
	v_add_co_ci_u32_e64 v2, null, s5, 0, s0
	s_cmp_eq_u32 s1, 0
	v_add_co_u32 v1, vcc_lo, 0x1000, v1
	s_delay_alu instid0(VALU_DEP_2)
	v_add_co_ci_u32_e32 v2, vcc_lo, 0, v2, vcc_lo
	s_clause 0x3
	global_load_b64 v[7:8], v15, s[4:5]
	global_load_b64 v[3:4], v15, s[4:5] offset:2048
	global_load_b64 v[5:6], v[1:2], off
	global_load_b64 v[1:2], v[1:2], off offset:2048
	s_cbranch_scc1 .LBB50_6
; %bb.1:
	v_cmp_ne_u32_e32 vcc_lo, 0, v0
	v_add_nc_u32_e32 v0, -8, v15
	s_set_inst_prefetch_distance 0x1
	.p2align	6
.LBB50_2:                               ; =>This Inner Loop Header: Depth=1
	v_mov_b32_e32 v9, 0x7b
	v_mov_b32_e32 v10, 0
	s_waitcnt vmcnt(0)
	ds_store_b64 v15, v[1:2]
	s_waitcnt lgkmcnt(0)
	s_barrier
	buffer_gl0_inv
	s_and_saveexec_b32 s0, vcc_lo
	s_cbranch_execz .LBB50_4
; %bb.3:                                ;   in Loop: Header=BB50_2 Depth=1
	ds_load_b64 v[9:10], v0
.LBB50_4:                               ;   in Loop: Header=BB50_2 Depth=1
	s_or_b32 exec_lo, exec_lo, s0
	v_lshlrev_b64 v[11:12], 1, v[7:8]
	v_lshlrev_b64 v[13:14], 1, v[3:4]
	v_lshlrev_b64 v[16:17], 1, v[5:6]
	v_lshlrev_b64 v[1:2], 1, v[1:2]
	s_add_i32 s1, s1, -1
	s_waitcnt lgkmcnt(0)
	v_sub_co_u32 v11, s0, v11, v9
	s_delay_alu instid0(VALU_DEP_1) | instskip(SKIP_1) | instid1(VALU_DEP_1)
	v_sub_co_ci_u32_e64 v12, s0, v12, v10, s0
	v_sub_co_u32 v9, s0, v13, v7
	v_sub_co_ci_u32_e64 v10, s0, v14, v8, s0
	v_sub_co_u32 v13, s0, v16, v3
	s_delay_alu instid0(VALU_DEP_1) | instskip(SKIP_1) | instid1(VALU_DEP_1)
	v_sub_co_ci_u32_e64 v14, s0, v17, v4, s0
	v_sub_co_u32 v1, s0, v1, v5
	v_sub_co_ci_u32_e64 v2, s0, v2, v6, s0
	s_cmp_lg_u32 s1, 0
	s_barrier
	buffer_gl0_inv
	s_cbranch_scc0 .LBB50_7
; %bb.5:                                ;   in Loop: Header=BB50_2 Depth=1
	v_dual_mov_b32 v7, v11 :: v_dual_mov_b32 v8, v12
	v_dual_mov_b32 v3, v9 :: v_dual_mov_b32 v4, v10
	;; [unrolled: 1-line block ×3, first 2 shown]
	s_branch .LBB50_2
.LBB50_6:
	s_waitcnt vmcnt(1)
	v_dual_mov_b32 v14, v6 :: v_dual_mov_b32 v13, v5
	v_dual_mov_b32 v10, v4 :: v_dual_mov_b32 v9, v3
	;; [unrolled: 1-line block ×3, first 2 shown]
.LBB50_7:
	s_set_inst_prefetch_distance 0x2
	s_add_u32 s0, s6, s2
	s_addc_u32 s1, s7, s3
	v_add_co_u32 v0, s2, s0, v15
	s_delay_alu instid0(VALU_DEP_1) | instskip(NEXT) | instid1(VALU_DEP_2)
	v_add_co_ci_u32_e64 v4, null, s1, 0, s2
	v_add_co_u32 v3, vcc_lo, 0x1000, v0
	s_delay_alu instid0(VALU_DEP_2)
	v_add_co_ci_u32_e32 v4, vcc_lo, 0, v4, vcc_lo
	s_clause 0x2
	global_store_b64 v15, v[11:12], s[0:1]
	global_store_b64 v15, v[9:10], s[0:1] offset:2048
	global_store_b64 v[3:4], v[13:14], off
	s_waitcnt vmcnt(0)
	global_store_b64 v[3:4], v[1:2], off offset:2048
	s_nop 0
	s_sendmsg sendmsg(MSG_DEALLOC_VGPRS)
	s_endpgm
	.section	.rodata,"a",@progbits
	.p2align	6, 0x0
	.amdhsa_kernel _Z6kernelI13subtract_leftLj256ELj4ELb1EJPxS1_jEEvDpT3_
		.amdhsa_group_segment_fixed_size 4096
		.amdhsa_private_segment_fixed_size 0
		.amdhsa_kernarg_size 20
		.amdhsa_user_sgpr_count 15
		.amdhsa_user_sgpr_dispatch_ptr 0
		.amdhsa_user_sgpr_queue_ptr 0
		.amdhsa_user_sgpr_kernarg_segment_ptr 1
		.amdhsa_user_sgpr_dispatch_id 0
		.amdhsa_user_sgpr_private_segment_size 0
		.amdhsa_wavefront_size32 1
		.amdhsa_uses_dynamic_stack 0
		.amdhsa_enable_private_segment 0
		.amdhsa_system_sgpr_workgroup_id_x 1
		.amdhsa_system_sgpr_workgroup_id_y 0
		.amdhsa_system_sgpr_workgroup_id_z 0
		.amdhsa_system_sgpr_workgroup_info 0
		.amdhsa_system_vgpr_workitem_id 0
		.amdhsa_next_free_vgpr 18
		.amdhsa_next_free_sgpr 16
		.amdhsa_reserve_vcc 1
		.amdhsa_float_round_mode_32 0
		.amdhsa_float_round_mode_16_64 0
		.amdhsa_float_denorm_mode_32 3
		.amdhsa_float_denorm_mode_16_64 3
		.amdhsa_dx10_clamp 1
		.amdhsa_ieee_mode 1
		.amdhsa_fp16_overflow 0
		.amdhsa_workgroup_processor_mode 1
		.amdhsa_memory_ordered 1
		.amdhsa_forward_progress 0
		.amdhsa_shared_vgpr_count 0
		.amdhsa_exception_fp_ieee_invalid_op 0
		.amdhsa_exception_fp_denorm_src 0
		.amdhsa_exception_fp_ieee_div_zero 0
		.amdhsa_exception_fp_ieee_overflow 0
		.amdhsa_exception_fp_ieee_underflow 0
		.amdhsa_exception_fp_ieee_inexact 0
		.amdhsa_exception_int_div_zero 0
	.end_amdhsa_kernel
	.section	.text._Z6kernelI13subtract_leftLj256ELj4ELb1EJPxS1_jEEvDpT3_,"axG",@progbits,_Z6kernelI13subtract_leftLj256ELj4ELb1EJPxS1_jEEvDpT3_,comdat
.Lfunc_end50:
	.size	_Z6kernelI13subtract_leftLj256ELj4ELb1EJPxS1_jEEvDpT3_, .Lfunc_end50-_Z6kernelI13subtract_leftLj256ELj4ELb1EJPxS1_jEEvDpT3_
                                        ; -- End function
	.section	.AMDGPU.csdata,"",@progbits
; Kernel info:
; codeLenInByte = 492
; NumSgprs: 18
; NumVgprs: 18
; ScratchSize: 0
; MemoryBound: 0
; FloatMode: 240
; IeeeMode: 1
; LDSByteSize: 4096 bytes/workgroup (compile time only)
; SGPRBlocks: 2
; VGPRBlocks: 2
; NumSGPRsForWavesPerEU: 18
; NumVGPRsForWavesPerEU: 18
; Occupancy: 16
; WaveLimiterHint : 1
; COMPUTE_PGM_RSRC2:SCRATCH_EN: 0
; COMPUTE_PGM_RSRC2:USER_SGPR: 15
; COMPUTE_PGM_RSRC2:TRAP_HANDLER: 0
; COMPUTE_PGM_RSRC2:TGID_X_EN: 1
; COMPUTE_PGM_RSRC2:TGID_Y_EN: 0
; COMPUTE_PGM_RSRC2:TGID_Z_EN: 0
; COMPUTE_PGM_RSRC2:TIDIG_COMP_CNT: 0
	.section	.text._Z6kernelI13subtract_leftLj256ELj8ELb1EJPxS1_jEEvDpT3_,"axG",@progbits,_Z6kernelI13subtract_leftLj256ELj8ELb1EJPxS1_jEEvDpT3_,comdat
	.protected	_Z6kernelI13subtract_leftLj256ELj8ELb1EJPxS1_jEEvDpT3_ ; -- Begin function _Z6kernelI13subtract_leftLj256ELj8ELb1EJPxS1_jEEvDpT3_
	.globl	_Z6kernelI13subtract_leftLj256ELj8ELb1EJPxS1_jEEvDpT3_
	.p2align	8
	.type	_Z6kernelI13subtract_leftLj256ELj8ELb1EJPxS1_jEEvDpT3_,@function
_Z6kernelI13subtract_leftLj256ELj8ELb1EJPxS1_jEEvDpT3_: ; @_Z6kernelI13subtract_leftLj256ELj8ELb1EJPxS1_jEEvDpT3_
; %bb.0:
	s_load_b128 s[4:7], s[0:1], 0x0
	s_mov_b32 s3, 0
	s_lshl_b32 s2, s15, 11
	v_lshlrev_b32_e32 v19, 3, v0
	s_lshl_b64 s[2:3], s[2:3], 3
	s_load_b32 s1, s[0:1], 0x10
	s_waitcnt lgkmcnt(0)
	s_add_u32 s4, s4, s2
	s_addc_u32 s5, s5, s3
	v_add_co_u32 v1, s0, s4, v19
	s_delay_alu instid0(VALU_DEP_1) | instskip(SKIP_1) | instid1(VALU_DEP_2)
	v_add_co_ci_u32_e64 v2, null, s5, 0, s0
	s_cmp_eq_u32 s1, 0
	v_add_co_u32 v5, vcc_lo, 0x1000, v1
	s_delay_alu instid0(VALU_DEP_2)
	v_add_co_ci_u32_e32 v6, vcc_lo, 0, v2, vcc_lo
	v_add_co_u32 v13, vcc_lo, v1, 0x2000
	v_add_co_ci_u32_e32 v14, vcc_lo, 0, v2, vcc_lo
	v_add_co_u32 v9, vcc_lo, 0x2000, v1
	;; [unrolled: 2-line block ×3, first 2 shown]
	v_add_co_ci_u32_e32 v18, vcc_lo, 0, v2, vcc_lo
	s_clause 0x7
	global_load_b64 v[15:16], v[13:14], off
	global_load_b64 v[1:2], v19, s[4:5]
	global_load_b64 v[3:4], v19, s[4:5] offset:2048
	global_load_b64 v[7:8], v[5:6], off offset:2048
	global_load_b64 v[9:10], v[9:10], off offset:2048
	global_load_b64 v[11:12], v[17:18], off
	global_load_b64 v[5:6], v[13:14], off offset:-4096
	global_load_b64 v[13:14], v[17:18], off offset:2048
	s_cbranch_scc1 .LBB51_5
; %bb.1:
	v_cmp_ne_u32_e32 vcc_lo, 0, v0
	v_add_nc_u32_e32 v0, -8, v19
	s_branch .LBB51_3
.LBB51_2:                               ;   in Loop: Header=BB51_3 Depth=1
	s_or_b32 exec_lo, exec_lo, s0
	v_sub_co_u32 v20, s0, v13, v11
	s_delay_alu instid0(VALU_DEP_1) | instskip(SKIP_1) | instid1(VALU_DEP_1)
	v_sub_co_ci_u32_e64 v21, s0, v14, v12, s0
	v_sub_co_u32 v22, s0, v11, v9
	v_sub_co_ci_u32_e64 v23, s0, v12, v10, s0
	v_sub_co_u32 v24, s0, v9, v15
	s_delay_alu instid0(VALU_DEP_1) | instskip(SKIP_1) | instid1(VALU_DEP_1)
	v_sub_co_ci_u32_e64 v25, s0, v10, v16, s0
	v_sub_co_u32 v26, s0, v15, v7
	v_sub_co_ci_u32_e64 v27, s0, v16, v8, s0
	;; [unrolled: 5-line block ×3, first 2 shown]
	s_waitcnt lgkmcnt(0)
	v_sub_co_u32 v17, s0, v1, v17
	s_delay_alu instid0(VALU_DEP_1) | instskip(SKIP_1) | instid1(VALU_DEP_1)
	v_sub_co_ci_u32_e64 v18, s0, v2, v18, s0
	v_sub_co_u32 v32, s0, v3, v1
	v_sub_co_ci_u32_e64 v33, s0, v4, v2, s0
	s_delay_alu instid0(VALU_DEP_4) | instskip(NEXT) | instid1(VALU_DEP_1)
	v_add_co_u32 v1, s0, v17, v1
	v_add_co_ci_u32_e64 v2, s0, v18, v2, s0
	s_delay_alu instid0(VALU_DEP_4) | instskip(NEXT) | instid1(VALU_DEP_1)
	v_add_co_u32 v3, s0, v32, v3
	v_add_co_ci_u32_e64 v4, s0, v33, v4, s0
	v_add_co_u32 v5, s0, v30, v5
	s_delay_alu instid0(VALU_DEP_1) | instskip(SKIP_1) | instid1(VALU_DEP_1)
	v_add_co_ci_u32_e64 v6, s0, v31, v6, s0
	v_add_co_u32 v7, s0, v28, v7
	v_add_co_ci_u32_e64 v8, s0, v29, v8, s0
	v_add_co_u32 v15, s0, v26, v15
	s_delay_alu instid0(VALU_DEP_1) | instskip(SKIP_1) | instid1(VALU_DEP_1)
	v_add_co_ci_u32_e64 v16, s0, v27, v16, s0
	;; [unrolled: 5-line block ×3, first 2 shown]
	v_add_co_u32 v13, s0, v20, v13
	v_add_co_ci_u32_e64 v14, s0, v21, v14, s0
	s_add_i32 s1, s1, -1
	s_delay_alu instid0(SALU_CYCLE_1)
	s_cmp_lg_u32 s1, 0
	s_barrier
	buffer_gl0_inv
	s_cbranch_scc0 .LBB51_5
.LBB51_3:                               ; =>This Inner Loop Header: Depth=1
	v_mov_b32_e32 v17, 0x7b
	v_mov_b32_e32 v18, 0
	s_waitcnt vmcnt(0)
	ds_store_b64 v19, v[13:14]
	s_waitcnt lgkmcnt(0)
	s_barrier
	buffer_gl0_inv
	s_and_saveexec_b32 s0, vcc_lo
	s_cbranch_execz .LBB51_2
; %bb.4:                                ;   in Loop: Header=BB51_3 Depth=1
	ds_load_b64 v[17:18], v0
	s_branch .LBB51_2
.LBB51_5:
	s_add_u32 s0, s6, s2
	s_addc_u32 s1, s7, s3
	v_add_co_u32 v0, s2, s0, v19
	s_delay_alu instid0(VALU_DEP_1) | instskip(NEXT) | instid1(VALU_DEP_2)
	v_add_co_ci_u32_e64 v24, null, s1, 0, s2
	v_add_co_u32 v17, vcc_lo, 0x1000, v0
	s_delay_alu instid0(VALU_DEP_2)
	v_add_co_ci_u32_e32 v18, vcc_lo, 0, v24, vcc_lo
	v_add_co_u32 v20, vcc_lo, v0, 0x2000
	v_add_co_ci_u32_e32 v21, vcc_lo, 0, v24, vcc_lo
	v_add_co_u32 v22, vcc_lo, 0x2000, v0
	v_add_co_ci_u32_e32 v23, vcc_lo, 0, v24, vcc_lo
	s_waitcnt vmcnt(7)
	global_store_b64 v[20:21], v[15:16], off
	v_add_co_u32 v15, vcc_lo, 0x3000, v0
	v_add_co_ci_u32_e32 v16, vcc_lo, 0, v24, vcc_lo
	s_waitcnt vmcnt(6)
	global_store_b64 v19, v[1:2], s[0:1]
	s_waitcnt vmcnt(5)
	global_store_b64 v19, v[3:4], s[0:1] offset:2048
	s_waitcnt vmcnt(4)
	global_store_b64 v[17:18], v[7:8], off offset:2048
	s_waitcnt vmcnt(3)
	global_store_b64 v[22:23], v[9:10], off offset:2048
	s_waitcnt vmcnt(2)
	global_store_b64 v[15:16], v[11:12], off
	s_waitcnt vmcnt(1)
	global_store_b64 v[20:21], v[5:6], off offset:-4096
	s_waitcnt vmcnt(0)
	global_store_b64 v[15:16], v[13:14], off offset:2048
	s_nop 0
	s_sendmsg sendmsg(MSG_DEALLOC_VGPRS)
	s_endpgm
	.section	.rodata,"a",@progbits
	.p2align	6, 0x0
	.amdhsa_kernel _Z6kernelI13subtract_leftLj256ELj8ELb1EJPxS1_jEEvDpT3_
		.amdhsa_group_segment_fixed_size 4096
		.amdhsa_private_segment_fixed_size 0
		.amdhsa_kernarg_size 20
		.amdhsa_user_sgpr_count 15
		.amdhsa_user_sgpr_dispatch_ptr 0
		.amdhsa_user_sgpr_queue_ptr 0
		.amdhsa_user_sgpr_kernarg_segment_ptr 1
		.amdhsa_user_sgpr_dispatch_id 0
		.amdhsa_user_sgpr_private_segment_size 0
		.amdhsa_wavefront_size32 1
		.amdhsa_uses_dynamic_stack 0
		.amdhsa_enable_private_segment 0
		.amdhsa_system_sgpr_workgroup_id_x 1
		.amdhsa_system_sgpr_workgroup_id_y 0
		.amdhsa_system_sgpr_workgroup_id_z 0
		.amdhsa_system_sgpr_workgroup_info 0
		.amdhsa_system_vgpr_workitem_id 0
		.amdhsa_next_free_vgpr 34
		.amdhsa_next_free_sgpr 16
		.amdhsa_reserve_vcc 1
		.amdhsa_float_round_mode_32 0
		.amdhsa_float_round_mode_16_64 0
		.amdhsa_float_denorm_mode_32 3
		.amdhsa_float_denorm_mode_16_64 3
		.amdhsa_dx10_clamp 1
		.amdhsa_ieee_mode 1
		.amdhsa_fp16_overflow 0
		.amdhsa_workgroup_processor_mode 1
		.amdhsa_memory_ordered 1
		.amdhsa_forward_progress 0
		.amdhsa_shared_vgpr_count 0
		.amdhsa_exception_fp_ieee_invalid_op 0
		.amdhsa_exception_fp_denorm_src 0
		.amdhsa_exception_fp_ieee_div_zero 0
		.amdhsa_exception_fp_ieee_overflow 0
		.amdhsa_exception_fp_ieee_underflow 0
		.amdhsa_exception_fp_ieee_inexact 0
		.amdhsa_exception_int_div_zero 0
	.end_amdhsa_kernel
	.section	.text._Z6kernelI13subtract_leftLj256ELj8ELb1EJPxS1_jEEvDpT3_,"axG",@progbits,_Z6kernelI13subtract_leftLj256ELj8ELb1EJPxS1_jEEvDpT3_,comdat
.Lfunc_end51:
	.size	_Z6kernelI13subtract_leftLj256ELj8ELb1EJPxS1_jEEvDpT3_, .Lfunc_end51-_Z6kernelI13subtract_leftLj256ELj8ELb1EJPxS1_jEEvDpT3_
                                        ; -- End function
	.section	.AMDGPU.csdata,"",@progbits
; Kernel info:
; codeLenInByte = 812
; NumSgprs: 18
; NumVgprs: 34
; ScratchSize: 0
; MemoryBound: 0
; FloatMode: 240
; IeeeMode: 1
; LDSByteSize: 4096 bytes/workgroup (compile time only)
; SGPRBlocks: 2
; VGPRBlocks: 4
; NumSGPRsForWavesPerEU: 18
; NumVGPRsForWavesPerEU: 34
; Occupancy: 16
; WaveLimiterHint : 1
; COMPUTE_PGM_RSRC2:SCRATCH_EN: 0
; COMPUTE_PGM_RSRC2:USER_SGPR: 15
; COMPUTE_PGM_RSRC2:TRAP_HANDLER: 0
; COMPUTE_PGM_RSRC2:TGID_X_EN: 1
; COMPUTE_PGM_RSRC2:TGID_Y_EN: 0
; COMPUTE_PGM_RSRC2:TGID_Z_EN: 0
; COMPUTE_PGM_RSRC2:TIDIG_COMP_CNT: 0
	.section	.text._Z6kernelI13subtract_leftLj256ELj16ELb1EJPxS1_jEEvDpT3_,"axG",@progbits,_Z6kernelI13subtract_leftLj256ELj16ELb1EJPxS1_jEEvDpT3_,comdat
	.protected	_Z6kernelI13subtract_leftLj256ELj16ELb1EJPxS1_jEEvDpT3_ ; -- Begin function _Z6kernelI13subtract_leftLj256ELj16ELb1EJPxS1_jEEvDpT3_
	.globl	_Z6kernelI13subtract_leftLj256ELj16ELb1EJPxS1_jEEvDpT3_
	.p2align	8
	.type	_Z6kernelI13subtract_leftLj256ELj16ELb1EJPxS1_jEEvDpT3_,@function
_Z6kernelI13subtract_leftLj256ELj16ELb1EJPxS1_jEEvDpT3_: ; @_Z6kernelI13subtract_leftLj256ELj16ELb1EJPxS1_jEEvDpT3_
; %bb.0:
	s_load_b128 s[4:7], s[0:1], 0x0
	s_mov_b32 s3, 0
	s_lshl_b32 s2, s15, 12
	v_lshlrev_b32_e32 v35, 3, v0
	s_lshl_b64 s[2:3], s[2:3], 3
	s_load_b32 s1, s[0:1], 0x10
	s_waitcnt lgkmcnt(0)
	s_add_u32 s4, s4, s2
	s_addc_u32 s5, s5, s3
	v_add_co_u32 v19, s0, s4, v35
	s_delay_alu instid0(VALU_DEP_1) | instskip(SKIP_1) | instid1(VALU_DEP_2)
	v_add_co_ci_u32_e64 v20, null, s5, 0, s0
	s_cmp_eq_u32 s1, 0
	v_add_co_u32 v1, vcc_lo, 0x1000, v19
	s_delay_alu instid0(VALU_DEP_2)
	v_add_co_ci_u32_e32 v2, vcc_lo, 0, v20, vcc_lo
	v_add_co_u32 v21, vcc_lo, v19, 0x2000
	v_add_co_ci_u32_e32 v22, vcc_lo, 0, v20, vcc_lo
	v_add_co_u32 v3, vcc_lo, 0x2000, v19
	;; [unrolled: 2-line block ×3, first 2 shown]
	v_add_co_ci_u32_e32 v6, vcc_lo, 0, v20, vcc_lo
	s_clause 0x4
	global_load_b64 v[29:30], v[21:22], off
	global_load_b64 v[23:24], v35, s[4:5]
	global_load_b64 v[25:26], v35, s[4:5] offset:2048
	global_load_b64 v[27:28], v[1:2], off offset:2048
	global_load_b64 v[31:32], v[3:4], off offset:2048
	v_add_co_u32 v1, vcc_lo, v19, 0x4000
	v_add_co_ci_u32_e32 v2, vcc_lo, 0, v20, vcc_lo
	v_add_co_u32 v9, vcc_lo, 0x4000, v19
	v_add_co_ci_u32_e32 v10, vcc_lo, 0, v20, vcc_lo
	;; [unrolled: 2-line block ×6, first 2 shown]
	s_clause 0xa
	global_load_b64 v[3:4], v[1:2], off offset:-4096
	global_load_b64 v[7:8], v[1:2], off
	global_load_b64 v[11:12], v[15:16], off offset:-4096
	global_load_b64 v[15:16], v[15:16], off
	global_load_b64 v[5:6], v[5:6], off offset:2048
	global_load_b64 v[9:10], v[9:10], off offset:2048
	;; [unrolled: 1-line block ×4, first 2 shown]
	global_load_b64 v[19:20], v[33:34], off
	global_load_b64 v[1:2], v[21:22], off offset:-4096
	global_load_b64 v[21:22], v[33:34], off offset:2048
	s_cbranch_scc1 .LBB52_5
; %bb.1:
	v_cmp_ne_u32_e32 vcc_lo, 0, v0
	v_add_nc_u32_e32 v0, -8, v35
	s_branch .LBB52_3
.LBB52_2:                               ;   in Loop: Header=BB52_3 Depth=1
	s_or_b32 exec_lo, exec_lo, s0
	v_sub_co_u32 v36, s0, v21, v19
	s_delay_alu instid0(VALU_DEP_1) | instskip(SKIP_1) | instid1(VALU_DEP_1)
	v_sub_co_ci_u32_e64 v37, s0, v22, v20, s0
	v_sub_co_u32 v38, s0, v19, v17
	v_sub_co_ci_u32_e64 v39, s0, v20, v18, s0
	v_sub_co_u32 v40, s0, v17, v15
	s_delay_alu instid0(VALU_DEP_1) | instskip(SKIP_1) | instid1(VALU_DEP_1)
	v_sub_co_ci_u32_e64 v41, s0, v18, v16, s0
	v_sub_co_u32 v42, s0, v15, v13
	v_sub_co_ci_u32_e64 v43, s0, v16, v14, s0
	;; [unrolled: 5-line block ×7, first 2 shown]
	s_waitcnt lgkmcnt(0)
	v_sub_co_u32 v33, s0, v23, v33
	s_delay_alu instid0(VALU_DEP_1) | instskip(SKIP_1) | instid1(VALU_DEP_1)
	v_sub_co_ci_u32_e64 v34, s0, v24, v34, s0
	v_sub_co_u32 v64, s0, v25, v23
	v_sub_co_ci_u32_e64 v65, s0, v26, v24, s0
	s_delay_alu instid0(VALU_DEP_4) | instskip(NEXT) | instid1(VALU_DEP_1)
	v_add_co_u32 v23, s0, v33, v23
	v_add_co_ci_u32_e64 v24, s0, v34, v24, s0
	s_delay_alu instid0(VALU_DEP_4) | instskip(NEXT) | instid1(VALU_DEP_1)
	v_add_co_u32 v25, s0, v64, v25
	v_add_co_ci_u32_e64 v26, s0, v65, v26, s0
	v_add_co_u32 v1, s0, v62, v1
	s_delay_alu instid0(VALU_DEP_1) | instskip(SKIP_1) | instid1(VALU_DEP_1)
	v_add_co_ci_u32_e64 v2, s0, v63, v2, s0
	v_add_co_u32 v27, s0, v60, v27
	v_add_co_ci_u32_e64 v28, s0, v61, v28, s0
	v_add_co_u32 v29, s0, v58, v29
	s_delay_alu instid0(VALU_DEP_1) | instskip(SKIP_1) | instid1(VALU_DEP_1)
	v_add_co_ci_u32_e64 v30, s0, v59, v30, s0
	;; [unrolled: 5-line block ×7, first 2 shown]
	v_add_co_u32 v21, s0, v36, v21
	v_add_co_ci_u32_e64 v22, s0, v37, v22, s0
	s_add_i32 s1, s1, -1
	s_delay_alu instid0(SALU_CYCLE_1)
	s_cmp_lg_u32 s1, 0
	s_barrier
	buffer_gl0_inv
	s_cbranch_scc0 .LBB52_5
.LBB52_3:                               ; =>This Inner Loop Header: Depth=1
	v_mov_b32_e32 v33, 0x7b
	v_mov_b32_e32 v34, 0
	s_waitcnt vmcnt(0)
	ds_store_b64 v35, v[21:22]
	s_waitcnt lgkmcnt(0)
	s_barrier
	buffer_gl0_inv
	s_and_saveexec_b32 s0, vcc_lo
	s_cbranch_execz .LBB52_2
; %bb.4:                                ;   in Loop: Header=BB52_3 Depth=1
	ds_load_b64 v[33:34], v0
	s_branch .LBB52_2
.LBB52_5:
	s_add_u32 s0, s6, s2
	s_addc_u32 s1, s7, s3
	v_add_co_u32 v0, s2, s0, v35
	s_delay_alu instid0(VALU_DEP_1) | instskip(NEXT) | instid1(VALU_DEP_2)
	v_add_co_ci_u32_e64 v40, null, s1, 0, s2
	v_add_co_u32 v33, vcc_lo, 0x1000, v0
	s_delay_alu instid0(VALU_DEP_2)
	v_add_co_ci_u32_e32 v34, vcc_lo, 0, v40, vcc_lo
	v_add_co_u32 v36, vcc_lo, v0, 0x2000
	v_add_co_ci_u32_e32 v37, vcc_lo, 0, v40, vcc_lo
	v_add_co_u32 v38, vcc_lo, 0x2000, v0
	v_add_co_ci_u32_e32 v39, vcc_lo, 0, v40, vcc_lo
	s_waitcnt vmcnt(15)
	global_store_b64 v[36:37], v[29:30], off
	s_waitcnt vmcnt(14)
	global_store_b64 v35, v[23:24], s[0:1]
	s_waitcnt vmcnt(13)
	global_store_b64 v35, v[25:26], s[0:1] offset:2048
	s_waitcnt vmcnt(12)
	global_store_b64 v[33:34], v[27:28], off offset:2048
	s_waitcnt vmcnt(11)
	global_store_b64 v[38:39], v[31:32], off offset:2048
	v_add_co_u32 v23, vcc_lo, 0x3000, v0
	v_add_co_ci_u32_e32 v24, vcc_lo, 0, v40, vcc_lo
	v_add_co_u32 v25, vcc_lo, v0, 0x4000
	v_add_co_ci_u32_e32 v26, vcc_lo, 0, v40, vcc_lo
	;; [unrolled: 2-line block ×6, first 2 shown]
	s_waitcnt vmcnt(10)
	global_store_b64 v[25:26], v[3:4], off offset:-4096
	s_waitcnt vmcnt(9)
	global_store_b64 v[25:26], v[7:8], off
	s_waitcnt vmcnt(8)
	global_store_b64 v[31:32], v[11:12], off offset:-4096
	s_waitcnt vmcnt(7)
	global_store_b64 v[31:32], v[15:16], off
	v_add_co_u32 v3, vcc_lo, 0x7000, v0
	v_add_co_ci_u32_e32 v4, vcc_lo, 0, v40, vcc_lo
	s_waitcnt vmcnt(6)
	global_store_b64 v[23:24], v[5:6], off offset:2048
	s_waitcnt vmcnt(5)
	global_store_b64 v[27:28], v[9:10], off offset:2048
	;; [unrolled: 2-line block ×4, first 2 shown]
	s_waitcnt vmcnt(2)
	global_store_b64 v[3:4], v[19:20], off
	s_waitcnt vmcnt(1)
	global_store_b64 v[36:37], v[1:2], off offset:-4096
	s_waitcnt vmcnt(0)
	global_store_b64 v[3:4], v[21:22], off offset:2048
	s_nop 0
	s_sendmsg sendmsg(MSG_DEALLOC_VGPRS)
	s_endpgm
	.section	.rodata,"a",@progbits
	.p2align	6, 0x0
	.amdhsa_kernel _Z6kernelI13subtract_leftLj256ELj16ELb1EJPxS1_jEEvDpT3_
		.amdhsa_group_segment_fixed_size 4096
		.amdhsa_private_segment_fixed_size 0
		.amdhsa_kernarg_size 20
		.amdhsa_user_sgpr_count 15
		.amdhsa_user_sgpr_dispatch_ptr 0
		.amdhsa_user_sgpr_queue_ptr 0
		.amdhsa_user_sgpr_kernarg_segment_ptr 1
		.amdhsa_user_sgpr_dispatch_id 0
		.amdhsa_user_sgpr_private_segment_size 0
		.amdhsa_wavefront_size32 1
		.amdhsa_uses_dynamic_stack 0
		.amdhsa_enable_private_segment 0
		.amdhsa_system_sgpr_workgroup_id_x 1
		.amdhsa_system_sgpr_workgroup_id_y 0
		.amdhsa_system_sgpr_workgroup_id_z 0
		.amdhsa_system_sgpr_workgroup_info 0
		.amdhsa_system_vgpr_workitem_id 0
		.amdhsa_next_free_vgpr 66
		.amdhsa_next_free_sgpr 16
		.amdhsa_reserve_vcc 1
		.amdhsa_float_round_mode_32 0
		.amdhsa_float_round_mode_16_64 0
		.amdhsa_float_denorm_mode_32 3
		.amdhsa_float_denorm_mode_16_64 3
		.amdhsa_dx10_clamp 1
		.amdhsa_ieee_mode 1
		.amdhsa_fp16_overflow 0
		.amdhsa_workgroup_processor_mode 1
		.amdhsa_memory_ordered 1
		.amdhsa_forward_progress 0
		.amdhsa_shared_vgpr_count 0
		.amdhsa_exception_fp_ieee_invalid_op 0
		.amdhsa_exception_fp_denorm_src 0
		.amdhsa_exception_fp_ieee_div_zero 0
		.amdhsa_exception_fp_ieee_overflow 0
		.amdhsa_exception_fp_ieee_underflow 0
		.amdhsa_exception_fp_ieee_inexact 0
		.amdhsa_exception_int_div_zero 0
	.end_amdhsa_kernel
	.section	.text._Z6kernelI13subtract_leftLj256ELj16ELb1EJPxS1_jEEvDpT3_,"axG",@progbits,_Z6kernelI13subtract_leftLj256ELj16ELb1EJPxS1_jEEvDpT3_,comdat
.Lfunc_end52:
	.size	_Z6kernelI13subtract_leftLj256ELj16ELb1EJPxS1_jEEvDpT3_, .Lfunc_end52-_Z6kernelI13subtract_leftLj256ELj16ELb1EJPxS1_jEEvDpT3_
                                        ; -- End function
	.section	.AMDGPU.csdata,"",@progbits
; Kernel info:
; codeLenInByte = 1456
; NumSgprs: 18
; NumVgprs: 66
; ScratchSize: 0
; MemoryBound: 0
; FloatMode: 240
; IeeeMode: 1
; LDSByteSize: 4096 bytes/workgroup (compile time only)
; SGPRBlocks: 2
; VGPRBlocks: 8
; NumSGPRsForWavesPerEU: 18
; NumVGPRsForWavesPerEU: 66
; Occupancy: 16
; WaveLimiterHint : 1
; COMPUTE_PGM_RSRC2:SCRATCH_EN: 0
; COMPUTE_PGM_RSRC2:USER_SGPR: 15
; COMPUTE_PGM_RSRC2:TRAP_HANDLER: 0
; COMPUTE_PGM_RSRC2:TGID_X_EN: 1
; COMPUTE_PGM_RSRC2:TGID_Y_EN: 0
; COMPUTE_PGM_RSRC2:TGID_Z_EN: 0
; COMPUTE_PGM_RSRC2:TIDIG_COMP_CNT: 0
	.section	.text._Z6kernelI13subtract_leftLj256ELj32ELb1EJPxS1_jEEvDpT3_,"axG",@progbits,_Z6kernelI13subtract_leftLj256ELj32ELb1EJPxS1_jEEvDpT3_,comdat
	.protected	_Z6kernelI13subtract_leftLj256ELj32ELb1EJPxS1_jEEvDpT3_ ; -- Begin function _Z6kernelI13subtract_leftLj256ELj32ELb1EJPxS1_jEEvDpT3_
	.globl	_Z6kernelI13subtract_leftLj256ELj32ELb1EJPxS1_jEEvDpT3_
	.p2align	8
	.type	_Z6kernelI13subtract_leftLj256ELj32ELb1EJPxS1_jEEvDpT3_,@function
_Z6kernelI13subtract_leftLj256ELj32ELb1EJPxS1_jEEvDpT3_: ; @_Z6kernelI13subtract_leftLj256ELj32ELb1EJPxS1_jEEvDpT3_
; %bb.0:
	s_load_b128 s[4:7], s[0:1], 0x0
	s_mov_b32 s3, 0
	s_lshl_b32 s2, s15, 13
	v_lshlrev_b32_e32 v67, 3, v0
	s_lshl_b64 s[2:3], s[2:3], 3
	s_load_b32 s1, s[0:1], 0x10
	s_waitcnt lgkmcnt(0)
	s_add_u32 s4, s4, s2
	s_addc_u32 s5, s5, s3
	v_add_co_u32 v51, s0, s4, v67
	s_delay_alu instid0(VALU_DEP_1) | instskip(SKIP_1) | instid1(VALU_DEP_2)
	v_add_co_ci_u32_e64 v52, null, s5, 0, s0
	s_cmp_eq_u32 s1, 0
	v_add_co_u32 v1, vcc_lo, 0x1000, v51
	s_delay_alu instid0(VALU_DEP_2)
	v_add_co_ci_u32_e32 v2, vcc_lo, 0, v52, vcc_lo
	v_add_co_u32 v53, vcc_lo, v51, 0x2000
	v_add_co_ci_u32_e32 v54, vcc_lo, 0, v52, vcc_lo
	v_add_co_u32 v3, vcc_lo, 0x2000, v51
	;; [unrolled: 2-line block ×3, first 2 shown]
	v_add_co_ci_u32_e32 v6, vcc_lo, 0, v52, vcc_lo
	s_clause 0x4
	global_load_b64 v[61:62], v[53:54], off
	global_load_b64 v[55:56], v67, s[4:5]
	global_load_b64 v[57:58], v67, s[4:5] offset:2048
	global_load_b64 v[59:60], v[1:2], off offset:2048
	global_load_b64 v[63:64], v[3:4], off offset:2048
	v_add_co_u32 v1, vcc_lo, v51, 0x4000
	v_add_co_ci_u32_e32 v2, vcc_lo, 0, v52, vcc_lo
	v_add_co_u32 v9, vcc_lo, 0x4000, v51
	v_add_co_ci_u32_e32 v10, vcc_lo, 0, v52, vcc_lo
	;; [unrolled: 2-line block ×5, first 2 shown]
	s_clause 0x7
	global_load_b64 v[3:4], v[1:2], off offset:-4096
	global_load_b64 v[7:8], v[1:2], off
	global_load_b64 v[11:12], v[15:16], off offset:-4096
	global_load_b64 v[15:16], v[15:16], off
	global_load_b64 v[5:6], v[5:6], off offset:2048
	global_load_b64 v[9:10], v[9:10], off offset:2048
	;; [unrolled: 1-line block ×4, first 2 shown]
	v_add_co_u32 v1, vcc_lo, 0x7000, v51
	v_add_co_ci_u32_e32 v2, vcc_lo, 0, v52, vcc_lo
	v_add_co_u32 v21, vcc_lo, v51, 0x8000
	v_add_co_ci_u32_e32 v22, vcc_lo, 0, v52, vcc_lo
	;; [unrolled: 2-line block ×6, first 2 shown]
	s_clause 0x7
	global_load_b64 v[19:20], v[21:22], off offset:-4096
	global_load_b64 v[23:24], v[21:22], off
	global_load_b64 v[27:28], v[31:32], off offset:-4096
	global_load_b64 v[31:32], v[31:32], off
	global_load_b64 v[21:22], v[1:2], off offset:2048
	global_load_b64 v[25:26], v[25:26], off offset:2048
	;; [unrolled: 1-line block ×4, first 2 shown]
	v_add_co_u32 v1, vcc_lo, 0xb000, v51
	v_add_co_ci_u32_e32 v2, vcc_lo, 0, v52, vcc_lo
	v_add_co_u32 v37, vcc_lo, v51, 0xc000
	v_add_co_ci_u32_e32 v38, vcc_lo, 0, v52, vcc_lo
	;; [unrolled: 2-line block ×7, first 2 shown]
	s_clause 0xa
	global_load_b64 v[35:36], v[37:38], off offset:-4096
	global_load_b64 v[39:40], v[37:38], off
	global_load_b64 v[43:44], v[47:48], off offset:-4096
	global_load_b64 v[47:48], v[47:48], off
	global_load_b64 v[37:38], v[1:2], off offset:2048
	global_load_b64 v[41:42], v[41:42], off offset:2048
	;; [unrolled: 1-line block ×4, first 2 shown]
	global_load_b64 v[51:52], v[65:66], off
	global_load_b64 v[1:2], v[53:54], off offset:-4096
	global_load_b64 v[53:54], v[65:66], off offset:2048
	s_cbranch_scc1 .LBB53_5
; %bb.1:
	v_cmp_ne_u32_e32 vcc_lo, 0, v0
	v_add_nc_u32_e32 v0, -8, v67
	s_branch .LBB53_3
.LBB53_2:                               ;   in Loop: Header=BB53_3 Depth=1
	s_or_b32 exec_lo, exec_lo, s0
	v_sub_co_u32 v68, s0, v53, v51
	s_delay_alu instid0(VALU_DEP_1) | instskip(SKIP_1) | instid1(VALU_DEP_1)
	v_sub_co_ci_u32_e64 v69, s0, v54, v52, s0
	v_sub_co_u32 v70, s0, v51, v49
	v_sub_co_ci_u32_e64 v71, s0, v52, v50, s0
	v_sub_co_u32 v72, s0, v49, v47
	s_delay_alu instid0(VALU_DEP_1) | instskip(SKIP_1) | instid1(VALU_DEP_1)
	v_sub_co_ci_u32_e64 v73, s0, v50, v48, s0
	v_sub_co_u32 v74, s0, v47, v45
	v_sub_co_ci_u32_e64 v75, s0, v48, v46, s0
	v_sub_co_u32 v76, s0, v45, v43
	s_delay_alu instid0(VALU_DEP_1) | instskip(SKIP_1) | instid1(VALU_DEP_1)
	v_sub_co_ci_u32_e64 v77, s0, v46, v44, s0
	v_sub_co_u32 v78, s0, v43, v41
	v_sub_co_ci_u32_e64 v79, s0, v44, v42, s0
	v_sub_co_u32 v80, s0, v41, v39
	s_delay_alu instid0(VALU_DEP_1) | instskip(SKIP_1) | instid1(VALU_DEP_1)
	v_sub_co_ci_u32_e64 v81, s0, v42, v40, s0
	v_sub_co_u32 v82, s0, v39, v37
	v_sub_co_ci_u32_e64 v83, s0, v40, v38, s0
	v_sub_co_u32 v84, s0, v37, v35
	s_delay_alu instid0(VALU_DEP_1) | instskip(SKIP_1) | instid1(VALU_DEP_1)
	v_sub_co_ci_u32_e64 v85, s0, v38, v36, s0
	v_sub_co_u32 v86, s0, v35, v33
	v_sub_co_ci_u32_e64 v87, s0, v36, v34, s0
	v_sub_co_u32 v88, s0, v33, v31
	s_delay_alu instid0(VALU_DEP_1) | instskip(SKIP_1) | instid1(VALU_DEP_1)
	v_sub_co_ci_u32_e64 v89, s0, v34, v32, s0
	v_sub_co_u32 v90, s0, v31, v29
	v_sub_co_ci_u32_e64 v91, s0, v32, v30, s0
	s_waitcnt lgkmcnt(0)
	v_sub_co_u32 v65, s0, v55, v65
	s_delay_alu instid0(VALU_DEP_1) | instskip(SKIP_1) | instid1(VALU_DEP_1)
	v_sub_co_ci_u32_e64 v66, s0, v56, v66, s0
	v_sub_co_u32 v92, s0, v57, v55
	v_sub_co_ci_u32_e64 v93, s0, v58, v56, s0
	s_delay_alu instid0(VALU_DEP_4) | instskip(NEXT) | instid1(VALU_DEP_1)
	v_add_co_u32 v55, s0, v65, v55
	v_add_co_ci_u32_e64 v56, s0, v66, v56, s0
	v_sub_co_u32 v65, s0, v1, v57
	s_delay_alu instid0(VALU_DEP_1) | instskip(SKIP_1) | instid1(VALU_DEP_1)
	v_sub_co_ci_u32_e64 v66, s0, v2, v58, s0
	v_add_co_u32 v57, s0, v92, v57
	v_add_co_ci_u32_e64 v58, s0, v93, v58, s0
	v_sub_co_u32 v92, s0, v59, v1
	s_delay_alu instid0(VALU_DEP_1) | instskip(SKIP_1) | instid1(VALU_DEP_1)
	v_sub_co_ci_u32_e64 v93, s0, v60, v2, s0
	;; [unrolled: 5-line block ×18, first 2 shown]
	v_add_co_u32 v27, s0, v65, v27
	v_add_co_ci_u32_e64 v28, s0, v66, v28, s0
	s_delay_alu instid0(VALU_DEP_4) | instskip(NEXT) | instid1(VALU_DEP_1)
	v_add_co_u32 v29, s0, v92, v29
	v_add_co_ci_u32_e64 v30, s0, v93, v30, s0
	v_add_co_u32 v31, s0, v90, v31
	s_delay_alu instid0(VALU_DEP_1) | instskip(SKIP_1) | instid1(VALU_DEP_1)
	v_add_co_ci_u32_e64 v32, s0, v91, v32, s0
	v_add_co_u32 v33, s0, v88, v33
	v_add_co_ci_u32_e64 v34, s0, v89, v34, s0
	v_add_co_u32 v35, s0, v86, v35
	s_delay_alu instid0(VALU_DEP_1) | instskip(SKIP_1) | instid1(VALU_DEP_1)
	v_add_co_ci_u32_e64 v36, s0, v87, v36, s0
	;; [unrolled: 5-line block ×6, first 2 shown]
	v_add_co_u32 v53, s0, v68, v53
	v_add_co_ci_u32_e64 v54, s0, v69, v54, s0
	s_add_i32 s1, s1, -1
	s_delay_alu instid0(SALU_CYCLE_1)
	s_cmp_lg_u32 s1, 0
	s_barrier
	buffer_gl0_inv
	s_cbranch_scc0 .LBB53_5
.LBB53_3:                               ; =>This Inner Loop Header: Depth=1
	v_mov_b32_e32 v65, 0x7b
	v_mov_b32_e32 v66, 0
	s_waitcnt vmcnt(0)
	ds_store_b64 v67, v[53:54]
	s_waitcnt lgkmcnt(0)
	s_barrier
	buffer_gl0_inv
	s_and_saveexec_b32 s0, vcc_lo
	s_cbranch_execz .LBB53_2
; %bb.4:                                ;   in Loop: Header=BB53_3 Depth=1
	ds_load_b64 v[65:66], v0
	s_branch .LBB53_2
.LBB53_5:
	s_add_u32 s0, s6, s2
	s_addc_u32 s1, s7, s3
	v_add_co_u32 v0, s2, s0, v67
	s_delay_alu instid0(VALU_DEP_1) | instskip(NEXT) | instid1(VALU_DEP_2)
	v_add_co_ci_u32_e64 v72, null, s1, 0, s2
	v_add_co_u32 v65, vcc_lo, 0x1000, v0
	s_delay_alu instid0(VALU_DEP_2)
	v_add_co_ci_u32_e32 v66, vcc_lo, 0, v72, vcc_lo
	v_add_co_u32 v68, vcc_lo, v0, 0x2000
	v_add_co_ci_u32_e32 v69, vcc_lo, 0, v72, vcc_lo
	v_add_co_u32 v70, vcc_lo, 0x2000, v0
	v_add_co_ci_u32_e32 v71, vcc_lo, 0, v72, vcc_lo
	s_waitcnt vmcnt(31)
	global_store_b64 v[68:69], v[61:62], off
	s_waitcnt vmcnt(30)
	global_store_b64 v67, v[55:56], s[0:1]
	s_waitcnt vmcnt(29)
	global_store_b64 v67, v[57:58], s[0:1] offset:2048
	s_waitcnt vmcnt(28)
	global_store_b64 v[65:66], v[59:60], off offset:2048
	s_waitcnt vmcnt(27)
	global_store_b64 v[70:71], v[63:64], off offset:2048
	v_add_co_u32 v55, vcc_lo, 0x3000, v0
	v_add_co_ci_u32_e32 v56, vcc_lo, 0, v72, vcc_lo
	v_add_co_u32 v57, vcc_lo, v0, 0x4000
	v_add_co_ci_u32_e32 v58, vcc_lo, 0, v72, vcc_lo
	v_add_co_u32 v59, vcc_lo, 0x4000, v0
	v_add_co_ci_u32_e32 v60, vcc_lo, 0, v72, vcc_lo
	v_add_co_u32 v61, vcc_lo, 0x5000, v0
	v_add_co_ci_u32_e32 v62, vcc_lo, 0, v72, vcc_lo
	v_add_co_u32 v63, vcc_lo, v0, 0x6000
	v_add_co_ci_u32_e32 v64, vcc_lo, 0, v72, vcc_lo
	v_add_co_u32 v65, vcc_lo, 0x6000, v0
	v_add_co_ci_u32_e32 v66, vcc_lo, 0, v72, vcc_lo
	s_waitcnt vmcnt(26)
	global_store_b64 v[57:58], v[3:4], off offset:-4096
	s_waitcnt vmcnt(25)
	global_store_b64 v[57:58], v[7:8], off
	s_waitcnt vmcnt(24)
	global_store_b64 v[63:64], v[11:12], off offset:-4096
	s_waitcnt vmcnt(23)
	global_store_b64 v[63:64], v[15:16], off
	s_waitcnt vmcnt(22)
	global_store_b64 v[55:56], v[5:6], off offset:2048
	s_waitcnt vmcnt(21)
	global_store_b64 v[59:60], v[9:10], off offset:2048
	;; [unrolled: 2-line block ×4, first 2 shown]
	v_add_co_u32 v3, vcc_lo, 0x7000, v0
	v_add_co_ci_u32_e32 v4, vcc_lo, 0, v72, vcc_lo
	v_add_co_u32 v5, vcc_lo, v0, 0x8000
	v_add_co_ci_u32_e32 v6, vcc_lo, 0, v72, vcc_lo
	;; [unrolled: 2-line block ×6, first 2 shown]
	s_waitcnt vmcnt(18)
	global_store_b64 v[5:6], v[19:20], off offset:-4096
	s_waitcnt vmcnt(17)
	global_store_b64 v[5:6], v[23:24], off
	s_waitcnt vmcnt(16)
	global_store_b64 v[11:12], v[27:28], off offset:-4096
	s_waitcnt vmcnt(15)
	global_store_b64 v[11:12], v[31:32], off
	s_waitcnt vmcnt(14)
	global_store_b64 v[3:4], v[21:22], off offset:2048
	s_waitcnt vmcnt(13)
	global_store_b64 v[7:8], v[25:26], off offset:2048
	;; [unrolled: 2-line block ×4, first 2 shown]
	v_add_co_u32 v3, vcc_lo, 0xb000, v0
	v_add_co_ci_u32_e32 v4, vcc_lo, 0, v72, vcc_lo
	v_add_co_u32 v5, vcc_lo, v0, 0xc000
	v_add_co_ci_u32_e32 v6, vcc_lo, 0, v72, vcc_lo
	;; [unrolled: 2-line block ×6, first 2 shown]
	s_waitcnt vmcnt(10)
	global_store_b64 v[5:6], v[35:36], off offset:-4096
	s_waitcnt vmcnt(9)
	global_store_b64 v[5:6], v[39:40], off
	s_waitcnt vmcnt(8)
	global_store_b64 v[11:12], v[43:44], off offset:-4096
	s_waitcnt vmcnt(7)
	global_store_b64 v[11:12], v[47:48], off
	v_add_co_u32 v5, vcc_lo, 0xf000, v0
	v_add_co_ci_u32_e32 v6, vcc_lo, 0, v72, vcc_lo
	s_waitcnt vmcnt(6)
	global_store_b64 v[3:4], v[37:38], off offset:2048
	s_waitcnt vmcnt(5)
	global_store_b64 v[7:8], v[41:42], off offset:2048
	;; [unrolled: 2-line block ×4, first 2 shown]
	s_waitcnt vmcnt(2)
	global_store_b64 v[5:6], v[51:52], off
	s_waitcnt vmcnt(1)
	global_store_b64 v[68:69], v[1:2], off offset:-4096
	s_waitcnt vmcnt(0)
	global_store_b64 v[5:6], v[53:54], off offset:2048
	s_nop 0
	s_sendmsg sendmsg(MSG_DEALLOC_VGPRS)
	s_endpgm
	.section	.rodata,"a",@progbits
	.p2align	6, 0x0
	.amdhsa_kernel _Z6kernelI13subtract_leftLj256ELj32ELb1EJPxS1_jEEvDpT3_
		.amdhsa_group_segment_fixed_size 4096
		.amdhsa_private_segment_fixed_size 0
		.amdhsa_kernarg_size 20
		.amdhsa_user_sgpr_count 15
		.amdhsa_user_sgpr_dispatch_ptr 0
		.amdhsa_user_sgpr_queue_ptr 0
		.amdhsa_user_sgpr_kernarg_segment_ptr 1
		.amdhsa_user_sgpr_dispatch_id 0
		.amdhsa_user_sgpr_private_segment_size 0
		.amdhsa_wavefront_size32 1
		.amdhsa_uses_dynamic_stack 0
		.amdhsa_enable_private_segment 0
		.amdhsa_system_sgpr_workgroup_id_x 1
		.amdhsa_system_sgpr_workgroup_id_y 0
		.amdhsa_system_sgpr_workgroup_id_z 0
		.amdhsa_system_sgpr_workgroup_info 0
		.amdhsa_system_vgpr_workitem_id 0
		.amdhsa_next_free_vgpr 94
		.amdhsa_next_free_sgpr 16
		.amdhsa_reserve_vcc 1
		.amdhsa_float_round_mode_32 0
		.amdhsa_float_round_mode_16_64 0
		.amdhsa_float_denorm_mode_32 3
		.amdhsa_float_denorm_mode_16_64 3
		.amdhsa_dx10_clamp 1
		.amdhsa_ieee_mode 1
		.amdhsa_fp16_overflow 0
		.amdhsa_workgroup_processor_mode 1
		.amdhsa_memory_ordered 1
		.amdhsa_forward_progress 0
		.amdhsa_shared_vgpr_count 0
		.amdhsa_exception_fp_ieee_invalid_op 0
		.amdhsa_exception_fp_denorm_src 0
		.amdhsa_exception_fp_ieee_div_zero 0
		.amdhsa_exception_fp_ieee_overflow 0
		.amdhsa_exception_fp_ieee_underflow 0
		.amdhsa_exception_fp_ieee_inexact 0
		.amdhsa_exception_int_div_zero 0
	.end_amdhsa_kernel
	.section	.text._Z6kernelI13subtract_leftLj256ELj32ELb1EJPxS1_jEEvDpT3_,"axG",@progbits,_Z6kernelI13subtract_leftLj256ELj32ELb1EJPxS1_jEEvDpT3_,comdat
.Lfunc_end53:
	.size	_Z6kernelI13subtract_leftLj256ELj32ELb1EJPxS1_jEEvDpT3_, .Lfunc_end53-_Z6kernelI13subtract_leftLj256ELj32ELb1EJPxS1_jEEvDpT3_
                                        ; -- End function
	.section	.AMDGPU.csdata,"",@progbits
; Kernel info:
; codeLenInByte = 2744
; NumSgprs: 18
; NumVgprs: 94
; ScratchSize: 0
; MemoryBound: 0
; FloatMode: 240
; IeeeMode: 1
; LDSByteSize: 4096 bytes/workgroup (compile time only)
; SGPRBlocks: 2
; VGPRBlocks: 11
; NumSGPRsForWavesPerEU: 18
; NumVGPRsForWavesPerEU: 94
; Occupancy: 16
; WaveLimiterHint : 1
; COMPUTE_PGM_RSRC2:SCRATCH_EN: 0
; COMPUTE_PGM_RSRC2:USER_SGPR: 15
; COMPUTE_PGM_RSRC2:TRAP_HANDLER: 0
; COMPUTE_PGM_RSRC2:TGID_X_EN: 1
; COMPUTE_PGM_RSRC2:TGID_Y_EN: 0
; COMPUTE_PGM_RSRC2:TGID_Z_EN: 0
; COMPUTE_PGM_RSRC2:TIDIG_COMP_CNT: 0
	.section	.text._Z6kernelI13subtract_leftLj256ELj1ELb1EJPdS1_jEEvDpT3_,"axG",@progbits,_Z6kernelI13subtract_leftLj256ELj1ELb1EJPdS1_jEEvDpT3_,comdat
	.protected	_Z6kernelI13subtract_leftLj256ELj1ELb1EJPdS1_jEEvDpT3_ ; -- Begin function _Z6kernelI13subtract_leftLj256ELj1ELb1EJPdS1_jEEvDpT3_
	.globl	_Z6kernelI13subtract_leftLj256ELj1ELb1EJPdS1_jEEvDpT3_
	.p2align	8
	.type	_Z6kernelI13subtract_leftLj256ELj1ELb1EJPdS1_jEEvDpT3_,@function
_Z6kernelI13subtract_leftLj256ELj1ELb1EJPdS1_jEEvDpT3_: ; @_Z6kernelI13subtract_leftLj256ELj1ELb1EJPdS1_jEEvDpT3_
; %bb.0:
	s_load_b128 s[4:7], s[0:1], 0x0
	s_lshl_b32 s2, s15, 8
	s_mov_b32 s3, 0
	v_lshlrev_b32_e32 v5, 3, v0
	s_lshl_b64 s[2:3], s[2:3], 3
	s_load_b32 s0, s[0:1], 0x10
	s_waitcnt lgkmcnt(0)
	s_add_u32 s4, s4, s2
	s_addc_u32 s5, s5, s3
	global_load_b64 v[1:2], v5, s[4:5]
	s_cmp_eq_u32 s0, 0
	s_cbranch_scc1 .LBB54_5
; %bb.1:
	v_cmp_ne_u32_e32 vcc_lo, 0, v0
	v_add_nc_u32_e32 v0, -8, v5
	s_branch .LBB54_3
	.p2align	6
.LBB54_2:                               ;   in Loop: Header=BB54_3 Depth=1
	s_or_b32 exec_lo, exec_lo, s1
	s_waitcnt lgkmcnt(0)
	v_add_f64 v[3:4], v[1:2], -v[3:4]
	s_add_i32 s0, s0, -1
	s_delay_alu instid0(SALU_CYCLE_1)
	s_cmp_lg_u32 s0, 0
	s_barrier
	buffer_gl0_inv
	v_add_f64 v[1:2], v[1:2], v[3:4]
	s_cbranch_scc0 .LBB54_5
.LBB54_3:                               ; =>This Inner Loop Header: Depth=1
	v_mov_b32_e32 v3, 0
	v_mov_b32_e32 v4, 0x405ec000
	s_waitcnt vmcnt(0)
	ds_store_b64 v5, v[1:2]
	s_waitcnt lgkmcnt(0)
	s_barrier
	buffer_gl0_inv
	s_and_saveexec_b32 s1, vcc_lo
	s_cbranch_execz .LBB54_2
; %bb.4:                                ;   in Loop: Header=BB54_3 Depth=1
	ds_load_b64 v[3:4], v0
	s_branch .LBB54_2
.LBB54_5:
	s_add_u32 s0, s6, s2
	s_addc_u32 s1, s7, s3
	s_waitcnt vmcnt(0)
	global_store_b64 v5, v[1:2], s[0:1]
	s_nop 0
	s_sendmsg sendmsg(MSG_DEALLOC_VGPRS)
	s_endpgm
	.section	.rodata,"a",@progbits
	.p2align	6, 0x0
	.amdhsa_kernel _Z6kernelI13subtract_leftLj256ELj1ELb1EJPdS1_jEEvDpT3_
		.amdhsa_group_segment_fixed_size 4096
		.amdhsa_private_segment_fixed_size 0
		.amdhsa_kernarg_size 20
		.amdhsa_user_sgpr_count 15
		.amdhsa_user_sgpr_dispatch_ptr 0
		.amdhsa_user_sgpr_queue_ptr 0
		.amdhsa_user_sgpr_kernarg_segment_ptr 1
		.amdhsa_user_sgpr_dispatch_id 0
		.amdhsa_user_sgpr_private_segment_size 0
		.amdhsa_wavefront_size32 1
		.amdhsa_uses_dynamic_stack 0
		.amdhsa_enable_private_segment 0
		.amdhsa_system_sgpr_workgroup_id_x 1
		.amdhsa_system_sgpr_workgroup_id_y 0
		.amdhsa_system_sgpr_workgroup_id_z 0
		.amdhsa_system_sgpr_workgroup_info 0
		.amdhsa_system_vgpr_workitem_id 0
		.amdhsa_next_free_vgpr 6
		.amdhsa_next_free_sgpr 16
		.amdhsa_reserve_vcc 1
		.amdhsa_float_round_mode_32 0
		.amdhsa_float_round_mode_16_64 0
		.amdhsa_float_denorm_mode_32 3
		.amdhsa_float_denorm_mode_16_64 3
		.amdhsa_dx10_clamp 1
		.amdhsa_ieee_mode 1
		.amdhsa_fp16_overflow 0
		.amdhsa_workgroup_processor_mode 1
		.amdhsa_memory_ordered 1
		.amdhsa_forward_progress 0
		.amdhsa_shared_vgpr_count 0
		.amdhsa_exception_fp_ieee_invalid_op 0
		.amdhsa_exception_fp_denorm_src 0
		.amdhsa_exception_fp_ieee_div_zero 0
		.amdhsa_exception_fp_ieee_overflow 0
		.amdhsa_exception_fp_ieee_underflow 0
		.amdhsa_exception_fp_ieee_inexact 0
		.amdhsa_exception_int_div_zero 0
	.end_amdhsa_kernel
	.section	.text._Z6kernelI13subtract_leftLj256ELj1ELb1EJPdS1_jEEvDpT3_,"axG",@progbits,_Z6kernelI13subtract_leftLj256ELj1ELb1EJPdS1_jEEvDpT3_,comdat
.Lfunc_end54:
	.size	_Z6kernelI13subtract_leftLj256ELj1ELb1EJPdS1_jEEvDpT3_, .Lfunc_end54-_Z6kernelI13subtract_leftLj256ELj1ELb1EJPdS1_jEEvDpT3_
                                        ; -- End function
	.section	.AMDGPU.csdata,"",@progbits
; Kernel info:
; codeLenInByte = 216
; NumSgprs: 18
; NumVgprs: 6
; ScratchSize: 0
; MemoryBound: 0
; FloatMode: 240
; IeeeMode: 1
; LDSByteSize: 4096 bytes/workgroup (compile time only)
; SGPRBlocks: 2
; VGPRBlocks: 0
; NumSGPRsForWavesPerEU: 18
; NumVGPRsForWavesPerEU: 6
; Occupancy: 16
; WaveLimiterHint : 0
; COMPUTE_PGM_RSRC2:SCRATCH_EN: 0
; COMPUTE_PGM_RSRC2:USER_SGPR: 15
; COMPUTE_PGM_RSRC2:TRAP_HANDLER: 0
; COMPUTE_PGM_RSRC2:TGID_X_EN: 1
; COMPUTE_PGM_RSRC2:TGID_Y_EN: 0
; COMPUTE_PGM_RSRC2:TGID_Z_EN: 0
; COMPUTE_PGM_RSRC2:TIDIG_COMP_CNT: 0
	.section	.text._Z6kernelI13subtract_leftLj256ELj3ELb1EJPdS1_jEEvDpT3_,"axG",@progbits,_Z6kernelI13subtract_leftLj256ELj3ELb1EJPdS1_jEEvDpT3_,comdat
	.protected	_Z6kernelI13subtract_leftLj256ELj3ELb1EJPdS1_jEEvDpT3_ ; -- Begin function _Z6kernelI13subtract_leftLj256ELj3ELb1EJPdS1_jEEvDpT3_
	.globl	_Z6kernelI13subtract_leftLj256ELj3ELb1EJPdS1_jEEvDpT3_
	.p2align	8
	.type	_Z6kernelI13subtract_leftLj256ELj3ELb1EJPdS1_jEEvDpT3_,@function
_Z6kernelI13subtract_leftLj256ELj3ELb1EJPdS1_jEEvDpT3_: ; @_Z6kernelI13subtract_leftLj256ELj3ELb1EJPdS1_jEEvDpT3_
; %bb.0:
	s_load_b128 s[4:7], s[0:1], 0x0
	s_mov_b32 s3, 0
	s_mul_i32 s2, s15, 0x300
	v_lshlrev_b32_e32 v9, 3, v0
	s_lshl_b64 s[2:3], s[2:3], 3
	s_load_b32 s0, s[0:1], 0x10
	s_waitcnt lgkmcnt(0)
	s_add_u32 s4, s4, s2
	s_addc_u32 s5, s5, s3
	v_add_co_u32 v1, s1, s4, v9
	s_delay_alu instid0(VALU_DEP_1) | instskip(SKIP_1) | instid1(VALU_DEP_2)
	v_add_co_ci_u32_e64 v2, null, s5, 0, s1
	s_cmp_eq_u32 s0, 0
	v_add_co_u32 v1, vcc_lo, 0x1000, v1
	s_delay_alu instid0(VALU_DEP_2)
	v_add_co_ci_u32_e32 v2, vcc_lo, 0, v2, vcc_lo
	s_clause 0x2
	global_load_b64 v[5:6], v9, s[4:5]
	global_load_b64 v[3:4], v9, s[4:5] offset:2048
	global_load_b64 v[1:2], v[1:2], off
	s_cbranch_scc1 .LBB55_5
; %bb.1:
	v_cmp_ne_u32_e32 vcc_lo, 0, v0
	v_add_nc_u32_e32 v0, -8, v9
	s_set_inst_prefetch_distance 0x1
	s_branch .LBB55_3
	.p2align	6
.LBB55_2:                               ;   in Loop: Header=BB55_3 Depth=1
	s_or_b32 exec_lo, exec_lo, s1
	s_waitcnt lgkmcnt(0)
	v_add_f64 v[7:8], v[5:6], -v[7:8]
	v_add_f64 v[10:11], v[3:4], -v[5:6]
	;; [unrolled: 1-line block ×3, first 2 shown]
	s_add_i32 s0, s0, -1
	s_delay_alu instid0(SALU_CYCLE_1)
	s_cmp_lg_u32 s0, 0
	s_barrier
	buffer_gl0_inv
	v_add_f64 v[5:6], v[5:6], v[7:8]
	v_add_f64 v[3:4], v[3:4], v[10:11]
	;; [unrolled: 1-line block ×3, first 2 shown]
	s_cbranch_scc0 .LBB55_5
.LBB55_3:                               ; =>This Inner Loop Header: Depth=1
	v_mov_b32_e32 v7, 0
	v_mov_b32_e32 v8, 0x405ec000
	s_waitcnt vmcnt(0)
	ds_store_b64 v9, v[1:2]
	s_waitcnt lgkmcnt(0)
	s_barrier
	buffer_gl0_inv
	s_and_saveexec_b32 s1, vcc_lo
	s_cbranch_execz .LBB55_2
; %bb.4:                                ;   in Loop: Header=BB55_3 Depth=1
	ds_load_b64 v[7:8], v0
	s_branch .LBB55_2
.LBB55_5:
	s_set_inst_prefetch_distance 0x2
	s_add_u32 s0, s6, s2
	s_addc_u32 s1, s7, s3
	v_add_co_u32 v0, s2, s0, v9
	s_delay_alu instid0(VALU_DEP_1) | instskip(NEXT) | instid1(VALU_DEP_2)
	v_add_co_ci_u32_e64 v8, null, s1, 0, s2
	v_add_co_u32 v7, vcc_lo, 0x1000, v0
	s_delay_alu instid0(VALU_DEP_2)
	v_add_co_ci_u32_e32 v8, vcc_lo, 0, v8, vcc_lo
	s_waitcnt vmcnt(2)
	global_store_b64 v9, v[5:6], s[0:1]
	s_waitcnt vmcnt(1)
	global_store_b64 v9, v[3:4], s[0:1] offset:2048
	s_waitcnt vmcnt(0)
	global_store_b64 v[7:8], v[1:2], off
	s_nop 0
	s_sendmsg sendmsg(MSG_DEALLOC_VGPRS)
	s_endpgm
	.section	.rodata,"a",@progbits
	.p2align	6, 0x0
	.amdhsa_kernel _Z6kernelI13subtract_leftLj256ELj3ELb1EJPdS1_jEEvDpT3_
		.amdhsa_group_segment_fixed_size 4096
		.amdhsa_private_segment_fixed_size 0
		.amdhsa_kernarg_size 20
		.amdhsa_user_sgpr_count 15
		.amdhsa_user_sgpr_dispatch_ptr 0
		.amdhsa_user_sgpr_queue_ptr 0
		.amdhsa_user_sgpr_kernarg_segment_ptr 1
		.amdhsa_user_sgpr_dispatch_id 0
		.amdhsa_user_sgpr_private_segment_size 0
		.amdhsa_wavefront_size32 1
		.amdhsa_uses_dynamic_stack 0
		.amdhsa_enable_private_segment 0
		.amdhsa_system_sgpr_workgroup_id_x 1
		.amdhsa_system_sgpr_workgroup_id_y 0
		.amdhsa_system_sgpr_workgroup_id_z 0
		.amdhsa_system_sgpr_workgroup_info 0
		.amdhsa_system_vgpr_workitem_id 0
		.amdhsa_next_free_vgpr 14
		.amdhsa_next_free_sgpr 16
		.amdhsa_reserve_vcc 1
		.amdhsa_float_round_mode_32 0
		.amdhsa_float_round_mode_16_64 0
		.amdhsa_float_denorm_mode_32 3
		.amdhsa_float_denorm_mode_16_64 3
		.amdhsa_dx10_clamp 1
		.amdhsa_ieee_mode 1
		.amdhsa_fp16_overflow 0
		.amdhsa_workgroup_processor_mode 1
		.amdhsa_memory_ordered 1
		.amdhsa_forward_progress 0
		.amdhsa_shared_vgpr_count 0
		.amdhsa_exception_fp_ieee_invalid_op 0
		.amdhsa_exception_fp_denorm_src 0
		.amdhsa_exception_fp_ieee_div_zero 0
		.amdhsa_exception_fp_ieee_overflow 0
		.amdhsa_exception_fp_ieee_underflow 0
		.amdhsa_exception_fp_ieee_inexact 0
		.amdhsa_exception_int_div_zero 0
	.end_amdhsa_kernel
	.section	.text._Z6kernelI13subtract_leftLj256ELj3ELb1EJPdS1_jEEvDpT3_,"axG",@progbits,_Z6kernelI13subtract_leftLj256ELj3ELb1EJPdS1_jEEvDpT3_,comdat
.Lfunc_end55:
	.size	_Z6kernelI13subtract_leftLj256ELj3ELb1EJPdS1_jEEvDpT3_, .Lfunc_end55-_Z6kernelI13subtract_leftLj256ELj3ELb1EJPdS1_jEEvDpT3_
                                        ; -- End function
	.section	.AMDGPU.csdata,"",@progbits
; Kernel info:
; codeLenInByte = 384
; NumSgprs: 18
; NumVgprs: 14
; ScratchSize: 0
; MemoryBound: 0
; FloatMode: 240
; IeeeMode: 1
; LDSByteSize: 4096 bytes/workgroup (compile time only)
; SGPRBlocks: 2
; VGPRBlocks: 1
; NumSGPRsForWavesPerEU: 18
; NumVGPRsForWavesPerEU: 14
; Occupancy: 16
; WaveLimiterHint : 1
; COMPUTE_PGM_RSRC2:SCRATCH_EN: 0
; COMPUTE_PGM_RSRC2:USER_SGPR: 15
; COMPUTE_PGM_RSRC2:TRAP_HANDLER: 0
; COMPUTE_PGM_RSRC2:TGID_X_EN: 1
; COMPUTE_PGM_RSRC2:TGID_Y_EN: 0
; COMPUTE_PGM_RSRC2:TGID_Z_EN: 0
; COMPUTE_PGM_RSRC2:TIDIG_COMP_CNT: 0
	.section	.text._Z6kernelI13subtract_leftLj256ELj4ELb1EJPdS1_jEEvDpT3_,"axG",@progbits,_Z6kernelI13subtract_leftLj256ELj4ELb1EJPdS1_jEEvDpT3_,comdat
	.protected	_Z6kernelI13subtract_leftLj256ELj4ELb1EJPdS1_jEEvDpT3_ ; -- Begin function _Z6kernelI13subtract_leftLj256ELj4ELb1EJPdS1_jEEvDpT3_
	.globl	_Z6kernelI13subtract_leftLj256ELj4ELb1EJPdS1_jEEvDpT3_
	.p2align	8
	.type	_Z6kernelI13subtract_leftLj256ELj4ELb1EJPdS1_jEEvDpT3_,@function
_Z6kernelI13subtract_leftLj256ELj4ELb1EJPdS1_jEEvDpT3_: ; @_Z6kernelI13subtract_leftLj256ELj4ELb1EJPdS1_jEEvDpT3_
; %bb.0:
	s_load_b128 s[4:7], s[0:1], 0x0
	s_mov_b32 s3, 0
	s_lshl_b32 s2, s15, 10
	v_lshlrev_b32_e32 v11, 3, v0
	s_lshl_b64 s[2:3], s[2:3], 3
	s_load_b32 s0, s[0:1], 0x10
	s_waitcnt lgkmcnt(0)
	s_add_u32 s4, s4, s2
	s_addc_u32 s5, s5, s3
	v_add_co_u32 v1, s1, s4, v11
	s_delay_alu instid0(VALU_DEP_1) | instskip(SKIP_1) | instid1(VALU_DEP_2)
	v_add_co_ci_u32_e64 v2, null, s5, 0, s1
	s_cmp_eq_u32 s0, 0
	v_add_co_u32 v1, vcc_lo, 0x1000, v1
	s_delay_alu instid0(VALU_DEP_2)
	v_add_co_ci_u32_e32 v2, vcc_lo, 0, v2, vcc_lo
	s_clause 0x3
	global_load_b64 v[7:8], v11, s[4:5]
	global_load_b64 v[5:6], v11, s[4:5] offset:2048
	global_load_b64 v[3:4], v[1:2], off
	global_load_b64 v[1:2], v[1:2], off offset:2048
	s_cbranch_scc1 .LBB56_5
; %bb.1:
	v_cmp_ne_u32_e32 vcc_lo, 0, v0
	v_add_nc_u32_e32 v0, -8, v11
	s_set_inst_prefetch_distance 0x1
	s_branch .LBB56_3
	.p2align	6
.LBB56_2:                               ;   in Loop: Header=BB56_3 Depth=1
	s_or_b32 exec_lo, exec_lo, s1
	s_waitcnt lgkmcnt(0)
	v_add_f64 v[9:10], v[7:8], -v[9:10]
	v_add_f64 v[12:13], v[5:6], -v[7:8]
	;; [unrolled: 1-line block ×4, first 2 shown]
	s_add_i32 s0, s0, -1
	s_delay_alu instid0(SALU_CYCLE_1)
	s_cmp_lg_u32 s0, 0
	s_barrier
	buffer_gl0_inv
	v_add_f64 v[7:8], v[7:8], v[9:10]
	v_add_f64 v[5:6], v[5:6], v[12:13]
	;; [unrolled: 1-line block ×4, first 2 shown]
	s_cbranch_scc0 .LBB56_5
.LBB56_3:                               ; =>This Inner Loop Header: Depth=1
	v_mov_b32_e32 v9, 0
	v_mov_b32_e32 v10, 0x405ec000
	s_waitcnt vmcnt(0)
	ds_store_b64 v11, v[1:2]
	s_waitcnt lgkmcnt(0)
	s_barrier
	buffer_gl0_inv
	s_and_saveexec_b32 s1, vcc_lo
	s_cbranch_execz .LBB56_2
; %bb.4:                                ;   in Loop: Header=BB56_3 Depth=1
	ds_load_b64 v[9:10], v0
	s_branch .LBB56_2
.LBB56_5:
	s_set_inst_prefetch_distance 0x2
	s_add_u32 s0, s6, s2
	s_addc_u32 s1, s7, s3
	v_add_co_u32 v0, s2, s0, v11
	s_delay_alu instid0(VALU_DEP_1) | instskip(NEXT) | instid1(VALU_DEP_2)
	v_add_co_ci_u32_e64 v10, null, s1, 0, s2
	v_add_co_u32 v9, vcc_lo, 0x1000, v0
	s_delay_alu instid0(VALU_DEP_2)
	v_add_co_ci_u32_e32 v10, vcc_lo, 0, v10, vcc_lo
	s_waitcnt vmcnt(3)
	global_store_b64 v11, v[7:8], s[0:1]
	s_waitcnt vmcnt(2)
	global_store_b64 v11, v[5:6], s[0:1] offset:2048
	s_waitcnt vmcnt(1)
	global_store_b64 v[9:10], v[3:4], off
	s_waitcnt vmcnt(0)
	global_store_b64 v[9:10], v[1:2], off offset:2048
	s_nop 0
	s_sendmsg sendmsg(MSG_DEALLOC_VGPRS)
	s_endpgm
	.section	.rodata,"a",@progbits
	.p2align	6, 0x0
	.amdhsa_kernel _Z6kernelI13subtract_leftLj256ELj4ELb1EJPdS1_jEEvDpT3_
		.amdhsa_group_segment_fixed_size 4096
		.amdhsa_private_segment_fixed_size 0
		.amdhsa_kernarg_size 20
		.amdhsa_user_sgpr_count 15
		.amdhsa_user_sgpr_dispatch_ptr 0
		.amdhsa_user_sgpr_queue_ptr 0
		.amdhsa_user_sgpr_kernarg_segment_ptr 1
		.amdhsa_user_sgpr_dispatch_id 0
		.amdhsa_user_sgpr_private_segment_size 0
		.amdhsa_wavefront_size32 1
		.amdhsa_uses_dynamic_stack 0
		.amdhsa_enable_private_segment 0
		.amdhsa_system_sgpr_workgroup_id_x 1
		.amdhsa_system_sgpr_workgroup_id_y 0
		.amdhsa_system_sgpr_workgroup_id_z 0
		.amdhsa_system_sgpr_workgroup_info 0
		.amdhsa_system_vgpr_workitem_id 0
		.amdhsa_next_free_vgpr 18
		.amdhsa_next_free_sgpr 16
		.amdhsa_reserve_vcc 1
		.amdhsa_float_round_mode_32 0
		.amdhsa_float_round_mode_16_64 0
		.amdhsa_float_denorm_mode_32 3
		.amdhsa_float_denorm_mode_16_64 3
		.amdhsa_dx10_clamp 1
		.amdhsa_ieee_mode 1
		.amdhsa_fp16_overflow 0
		.amdhsa_workgroup_processor_mode 1
		.amdhsa_memory_ordered 1
		.amdhsa_forward_progress 0
		.amdhsa_shared_vgpr_count 0
		.amdhsa_exception_fp_ieee_invalid_op 0
		.amdhsa_exception_fp_denorm_src 0
		.amdhsa_exception_fp_ieee_div_zero 0
		.amdhsa_exception_fp_ieee_overflow 0
		.amdhsa_exception_fp_ieee_underflow 0
		.amdhsa_exception_fp_ieee_inexact 0
		.amdhsa_exception_int_div_zero 0
	.end_amdhsa_kernel
	.section	.text._Z6kernelI13subtract_leftLj256ELj4ELb1EJPdS1_jEEvDpT3_,"axG",@progbits,_Z6kernelI13subtract_leftLj256ELj4ELb1EJPdS1_jEEvDpT3_,comdat
.Lfunc_end56:
	.size	_Z6kernelI13subtract_leftLj256ELj4ELb1EJPdS1_jEEvDpT3_, .Lfunc_end56-_Z6kernelI13subtract_leftLj256ELj4ELb1EJPdS1_jEEvDpT3_
                                        ; -- End function
	.section	.AMDGPU.csdata,"",@progbits
; Kernel info:
; codeLenInByte = 416
; NumSgprs: 18
; NumVgprs: 18
; ScratchSize: 0
; MemoryBound: 0
; FloatMode: 240
; IeeeMode: 1
; LDSByteSize: 4096 bytes/workgroup (compile time only)
; SGPRBlocks: 2
; VGPRBlocks: 2
; NumSGPRsForWavesPerEU: 18
; NumVGPRsForWavesPerEU: 18
; Occupancy: 16
; WaveLimiterHint : 1
; COMPUTE_PGM_RSRC2:SCRATCH_EN: 0
; COMPUTE_PGM_RSRC2:USER_SGPR: 15
; COMPUTE_PGM_RSRC2:TRAP_HANDLER: 0
; COMPUTE_PGM_RSRC2:TGID_X_EN: 1
; COMPUTE_PGM_RSRC2:TGID_Y_EN: 0
; COMPUTE_PGM_RSRC2:TGID_Z_EN: 0
; COMPUTE_PGM_RSRC2:TIDIG_COMP_CNT: 0
	.section	.text._Z6kernelI13subtract_leftLj256ELj8ELb1EJPdS1_jEEvDpT3_,"axG",@progbits,_Z6kernelI13subtract_leftLj256ELj8ELb1EJPdS1_jEEvDpT3_,comdat
	.protected	_Z6kernelI13subtract_leftLj256ELj8ELb1EJPdS1_jEEvDpT3_ ; -- Begin function _Z6kernelI13subtract_leftLj256ELj8ELb1EJPdS1_jEEvDpT3_
	.globl	_Z6kernelI13subtract_leftLj256ELj8ELb1EJPdS1_jEEvDpT3_
	.p2align	8
	.type	_Z6kernelI13subtract_leftLj256ELj8ELb1EJPdS1_jEEvDpT3_,@function
_Z6kernelI13subtract_leftLj256ELj8ELb1EJPdS1_jEEvDpT3_: ; @_Z6kernelI13subtract_leftLj256ELj8ELb1EJPdS1_jEEvDpT3_
; %bb.0:
	s_load_b128 s[4:7], s[0:1], 0x0
	s_mov_b32 s3, 0
	s_lshl_b32 s2, s15, 11
	v_lshlrev_b32_e32 v19, 3, v0
	s_lshl_b64 s[2:3], s[2:3], 3
	s_load_b32 s0, s[0:1], 0x10
	s_waitcnt lgkmcnt(0)
	s_add_u32 s4, s4, s2
	s_addc_u32 s5, s5, s3
	v_add_co_u32 v5, s1, s4, v19
	s_delay_alu instid0(VALU_DEP_1) | instskip(SKIP_1) | instid1(VALU_DEP_2)
	v_add_co_ci_u32_e64 v6, null, s5, 0, s1
	s_cmp_eq_u32 s0, 0
	v_add_co_u32 v1, vcc_lo, 0x1000, v5
	s_delay_alu instid0(VALU_DEP_2)
	v_add_co_ci_u32_e32 v2, vcc_lo, 0, v6, vcc_lo
	v_add_co_u32 v9, vcc_lo, v5, 0x2000
	v_add_co_ci_u32_e32 v10, vcc_lo, 0, v6, vcc_lo
	v_add_co_u32 v3, vcc_lo, 0x2000, v5
	;; [unrolled: 2-line block ×3, first 2 shown]
	v_add_co_ci_u32_e32 v18, vcc_lo, 0, v6, vcc_lo
	s_clause 0x7
	global_load_b64 v[15:16], v[9:10], off
	global_load_b64 v[13:14], v19, s[4:5]
	global_load_b64 v[11:12], v19, s[4:5] offset:2048
	global_load_b64 v[7:8], v[1:2], off offset:2048
	global_load_b64 v[5:6], v[3:4], off offset:2048
	global_load_b64 v[3:4], v[17:18], off
	global_load_b64 v[9:10], v[9:10], off offset:-4096
	global_load_b64 v[1:2], v[17:18], off offset:2048
	s_cbranch_scc1 .LBB57_5
; %bb.1:
	v_cmp_ne_u32_e32 vcc_lo, 0, v0
	v_add_nc_u32_e32 v0, -8, v19
	s_set_inst_prefetch_distance 0x1
	s_branch .LBB57_3
	.p2align	6
.LBB57_2:                               ;   in Loop: Header=BB57_3 Depth=1
	s_or_b32 exec_lo, exec_lo, s1
	s_waitcnt lgkmcnt(0)
	v_add_f64 v[17:18], v[13:14], -v[17:18]
	v_add_f64 v[20:21], v[11:12], -v[13:14]
	;; [unrolled: 1-line block ×8, first 2 shown]
	s_add_i32 s0, s0, -1
	s_delay_alu instid0(SALU_CYCLE_1)
	s_cmp_lg_u32 s0, 0
	s_barrier
	buffer_gl0_inv
	v_add_f64 v[13:14], v[13:14], v[17:18]
	v_add_f64 v[11:12], v[11:12], v[20:21]
	;; [unrolled: 1-line block ×8, first 2 shown]
	s_cbranch_scc0 .LBB57_5
.LBB57_3:                               ; =>This Inner Loop Header: Depth=1
	v_mov_b32_e32 v17, 0
	v_mov_b32_e32 v18, 0x405ec000
	s_waitcnt vmcnt(0)
	ds_store_b64 v19, v[1:2]
	s_waitcnt lgkmcnt(0)
	s_barrier
	buffer_gl0_inv
	s_and_saveexec_b32 s1, vcc_lo
	s_cbranch_execz .LBB57_2
; %bb.4:                                ;   in Loop: Header=BB57_3 Depth=1
	ds_load_b64 v[17:18], v0
	s_branch .LBB57_2
.LBB57_5:
	s_set_inst_prefetch_distance 0x2
	s_add_u32 s0, s6, s2
	s_addc_u32 s1, s7, s3
	v_add_co_u32 v0, s2, s0, v19
	s_delay_alu instid0(VALU_DEP_1) | instskip(NEXT) | instid1(VALU_DEP_2)
	v_add_co_ci_u32_e64 v24, null, s1, 0, s2
	v_add_co_u32 v17, vcc_lo, 0x1000, v0
	s_delay_alu instid0(VALU_DEP_2)
	v_add_co_ci_u32_e32 v18, vcc_lo, 0, v24, vcc_lo
	v_add_co_u32 v20, vcc_lo, v0, 0x2000
	v_add_co_ci_u32_e32 v21, vcc_lo, 0, v24, vcc_lo
	v_add_co_u32 v22, vcc_lo, 0x2000, v0
	v_add_co_ci_u32_e32 v23, vcc_lo, 0, v24, vcc_lo
	s_waitcnt vmcnt(7)
	global_store_b64 v[20:21], v[15:16], off
	v_add_co_u32 v15, vcc_lo, 0x3000, v0
	v_add_co_ci_u32_e32 v16, vcc_lo, 0, v24, vcc_lo
	s_waitcnt vmcnt(6)
	global_store_b64 v19, v[13:14], s[0:1]
	s_waitcnt vmcnt(5)
	global_store_b64 v19, v[11:12], s[0:1] offset:2048
	s_waitcnt vmcnt(4)
	global_store_b64 v[17:18], v[7:8], off offset:2048
	s_waitcnt vmcnt(3)
	global_store_b64 v[22:23], v[5:6], off offset:2048
	s_waitcnt vmcnt(2)
	global_store_b64 v[15:16], v[3:4], off
	s_waitcnt vmcnt(1)
	global_store_b64 v[20:21], v[9:10], off offset:-4096
	s_waitcnt vmcnt(0)
	global_store_b64 v[15:16], v[1:2], off offset:2048
	s_nop 0
	s_sendmsg sendmsg(MSG_DEALLOC_VGPRS)
	s_endpgm
	.section	.rodata,"a",@progbits
	.p2align	6, 0x0
	.amdhsa_kernel _Z6kernelI13subtract_leftLj256ELj8ELb1EJPdS1_jEEvDpT3_
		.amdhsa_group_segment_fixed_size 4096
		.amdhsa_private_segment_fixed_size 0
		.amdhsa_kernarg_size 20
		.amdhsa_user_sgpr_count 15
		.amdhsa_user_sgpr_dispatch_ptr 0
		.amdhsa_user_sgpr_queue_ptr 0
		.amdhsa_user_sgpr_kernarg_segment_ptr 1
		.amdhsa_user_sgpr_dispatch_id 0
		.amdhsa_user_sgpr_private_segment_size 0
		.amdhsa_wavefront_size32 1
		.amdhsa_uses_dynamic_stack 0
		.amdhsa_enable_private_segment 0
		.amdhsa_system_sgpr_workgroup_id_x 1
		.amdhsa_system_sgpr_workgroup_id_y 0
		.amdhsa_system_sgpr_workgroup_id_z 0
		.amdhsa_system_sgpr_workgroup_info 0
		.amdhsa_system_vgpr_workitem_id 0
		.amdhsa_next_free_vgpr 34
		.amdhsa_next_free_sgpr 16
		.amdhsa_reserve_vcc 1
		.amdhsa_float_round_mode_32 0
		.amdhsa_float_round_mode_16_64 0
		.amdhsa_float_denorm_mode_32 3
		.amdhsa_float_denorm_mode_16_64 3
		.amdhsa_dx10_clamp 1
		.amdhsa_ieee_mode 1
		.amdhsa_fp16_overflow 0
		.amdhsa_workgroup_processor_mode 1
		.amdhsa_memory_ordered 1
		.amdhsa_forward_progress 0
		.amdhsa_shared_vgpr_count 0
		.amdhsa_exception_fp_ieee_invalid_op 0
		.amdhsa_exception_fp_denorm_src 0
		.amdhsa_exception_fp_ieee_div_zero 0
		.amdhsa_exception_fp_ieee_overflow 0
		.amdhsa_exception_fp_ieee_underflow 0
		.amdhsa_exception_fp_ieee_inexact 0
		.amdhsa_exception_int_div_zero 0
	.end_amdhsa_kernel
	.section	.text._Z6kernelI13subtract_leftLj256ELj8ELb1EJPdS1_jEEvDpT3_,"axG",@progbits,_Z6kernelI13subtract_leftLj256ELj8ELb1EJPdS1_jEEvDpT3_,comdat
.Lfunc_end57:
	.size	_Z6kernelI13subtract_leftLj256ELj8ELb1EJPdS1_jEEvDpT3_, .Lfunc_end57-_Z6kernelI13subtract_leftLj256ELj8ELb1EJPdS1_jEEvDpT3_
                                        ; -- End function
	.section	.AMDGPU.csdata,"",@progbits
; Kernel info:
; codeLenInByte = 656
; NumSgprs: 18
; NumVgprs: 34
; ScratchSize: 0
; MemoryBound: 0
; FloatMode: 240
; IeeeMode: 1
; LDSByteSize: 4096 bytes/workgroup (compile time only)
; SGPRBlocks: 2
; VGPRBlocks: 4
; NumSGPRsForWavesPerEU: 18
; NumVGPRsForWavesPerEU: 34
; Occupancy: 16
; WaveLimiterHint : 1
; COMPUTE_PGM_RSRC2:SCRATCH_EN: 0
; COMPUTE_PGM_RSRC2:USER_SGPR: 15
; COMPUTE_PGM_RSRC2:TRAP_HANDLER: 0
; COMPUTE_PGM_RSRC2:TGID_X_EN: 1
; COMPUTE_PGM_RSRC2:TGID_Y_EN: 0
; COMPUTE_PGM_RSRC2:TGID_Z_EN: 0
; COMPUTE_PGM_RSRC2:TIDIG_COMP_CNT: 0
	.section	.text._Z6kernelI13subtract_leftLj256ELj16ELb1EJPdS1_jEEvDpT3_,"axG",@progbits,_Z6kernelI13subtract_leftLj256ELj16ELb1EJPdS1_jEEvDpT3_,comdat
	.protected	_Z6kernelI13subtract_leftLj256ELj16ELb1EJPdS1_jEEvDpT3_ ; -- Begin function _Z6kernelI13subtract_leftLj256ELj16ELb1EJPdS1_jEEvDpT3_
	.globl	_Z6kernelI13subtract_leftLj256ELj16ELb1EJPdS1_jEEvDpT3_
	.p2align	8
	.type	_Z6kernelI13subtract_leftLj256ELj16ELb1EJPdS1_jEEvDpT3_,@function
_Z6kernelI13subtract_leftLj256ELj16ELb1EJPdS1_jEEvDpT3_: ; @_Z6kernelI13subtract_leftLj256ELj16ELb1EJPdS1_jEEvDpT3_
; %bb.0:
	s_load_b128 s[4:7], s[0:1], 0x0
	s_mov_b32 s3, 0
	s_lshl_b32 s2, s15, 12
	v_lshlrev_b32_e32 v35, 3, v0
	s_lshl_b64 s[2:3], s[2:3], 3
	s_load_b32 s0, s[0:1], 0x10
	s_waitcnt lgkmcnt(0)
	s_add_u32 s4, s4, s2
	s_addc_u32 s5, s5, s3
	v_add_co_u32 v13, s1, s4, v35
	s_delay_alu instid0(VALU_DEP_1) | instskip(SKIP_1) | instid1(VALU_DEP_2)
	v_add_co_ci_u32_e64 v14, null, s5, 0, s1
	s_cmp_eq_u32 s0, 0
	v_add_co_u32 v1, vcc_lo, 0x1000, v13
	s_delay_alu instid0(VALU_DEP_2)
	v_add_co_ci_u32_e32 v2, vcc_lo, 0, v14, vcc_lo
	v_add_co_u32 v21, vcc_lo, v13, 0x2000
	v_add_co_ci_u32_e32 v22, vcc_lo, 0, v14, vcc_lo
	v_add_co_u32 v3, vcc_lo, 0x2000, v13
	;; [unrolled: 2-line block ×3, first 2 shown]
	v_add_co_ci_u32_e32 v6, vcc_lo, 0, v14, vcc_lo
	s_clause 0x4
	global_load_b64 v[25:26], v[21:22], off
	global_load_b64 v[31:32], v35, s[4:5]
	global_load_b64 v[29:30], v35, s[4:5] offset:2048
	global_load_b64 v[27:28], v[1:2], off offset:2048
	global_load_b64 v[23:24], v[3:4], off offset:2048
	v_add_co_u32 v1, vcc_lo, v13, 0x4000
	v_add_co_ci_u32_e32 v2, vcc_lo, 0, v14, vcc_lo
	v_add_co_u32 v3, vcc_lo, 0x4000, v13
	v_add_co_ci_u32_e32 v4, vcc_lo, 0, v14, vcc_lo
	;; [unrolled: 2-line block ×5, first 2 shown]
	s_clause 0x3
	global_load_b64 v[19:20], v[1:2], off offset:-4096
	global_load_b64 v[15:16], v[1:2], off
	global_load_b64 v[11:12], v[7:8], off offset:-4096
	global_load_b64 v[7:8], v[7:8], off
	v_add_co_u32 v1, vcc_lo, 0x7000, v13
	v_add_co_ci_u32_e32 v2, vcc_lo, 0, v14, vcc_lo
	s_clause 0x6
	global_load_b64 v[17:18], v[5:6], off offset:2048
	global_load_b64 v[13:14], v[3:4], off offset:2048
	;; [unrolled: 1-line block ×4, first 2 shown]
	global_load_b64 v[3:4], v[1:2], off
	global_load_b64 v[21:22], v[21:22], off offset:-4096
	global_load_b64 v[1:2], v[1:2], off offset:2048
	s_cbranch_scc1 .LBB58_5
; %bb.1:
	v_cmp_ne_u32_e32 vcc_lo, 0, v0
	v_add_nc_u32_e32 v0, -8, v35
	s_branch .LBB58_3
.LBB58_2:                               ;   in Loop: Header=BB58_3 Depth=1
	s_or_b32 exec_lo, exec_lo, s1
	s_waitcnt lgkmcnt(0)
	v_add_f64 v[33:34], v[31:32], -v[33:34]
	v_add_f64 v[36:37], v[29:30], -v[31:32]
	;; [unrolled: 1-line block ×16, first 2 shown]
	s_add_i32 s0, s0, -1
	s_delay_alu instid0(SALU_CYCLE_1)
	s_cmp_lg_u32 s0, 0
	s_barrier
	buffer_gl0_inv
	v_add_f64 v[31:32], v[31:32], v[33:34]
	v_add_f64 v[29:30], v[29:30], v[36:37]
	;; [unrolled: 1-line block ×16, first 2 shown]
	s_cbranch_scc0 .LBB58_5
.LBB58_3:                               ; =>This Inner Loop Header: Depth=1
	v_mov_b32_e32 v33, 0
	v_mov_b32_e32 v34, 0x405ec000
	s_waitcnt vmcnt(0)
	ds_store_b64 v35, v[1:2]
	s_waitcnt lgkmcnt(0)
	s_barrier
	buffer_gl0_inv
	s_and_saveexec_b32 s1, vcc_lo
	s_cbranch_execz .LBB58_2
; %bb.4:                                ;   in Loop: Header=BB58_3 Depth=1
	ds_load_b64 v[33:34], v0
	s_branch .LBB58_2
.LBB58_5:
	s_add_u32 s0, s6, s2
	s_addc_u32 s1, s7, s3
	v_add_co_u32 v0, s2, s0, v35
	s_delay_alu instid0(VALU_DEP_1) | instskip(NEXT) | instid1(VALU_DEP_2)
	v_add_co_ci_u32_e64 v40, null, s1, 0, s2
	v_add_co_u32 v33, vcc_lo, 0x1000, v0
	s_delay_alu instid0(VALU_DEP_2)
	v_add_co_ci_u32_e32 v34, vcc_lo, 0, v40, vcc_lo
	v_add_co_u32 v36, vcc_lo, v0, 0x2000
	v_add_co_ci_u32_e32 v37, vcc_lo, 0, v40, vcc_lo
	v_add_co_u32 v38, vcc_lo, 0x2000, v0
	v_add_co_ci_u32_e32 v39, vcc_lo, 0, v40, vcc_lo
	s_waitcnt vmcnt(15)
	global_store_b64 v[36:37], v[25:26], off
	s_waitcnt vmcnt(14)
	global_store_b64 v35, v[31:32], s[0:1]
	s_waitcnt vmcnt(13)
	global_store_b64 v35, v[29:30], s[0:1] offset:2048
	s_waitcnt vmcnt(12)
	global_store_b64 v[33:34], v[27:28], off offset:2048
	s_waitcnt vmcnt(11)
	global_store_b64 v[38:39], v[23:24], off offset:2048
	v_add_co_u32 v23, vcc_lo, 0x3000, v0
	v_add_co_ci_u32_e32 v24, vcc_lo, 0, v40, vcc_lo
	v_add_co_u32 v25, vcc_lo, v0, 0x4000
	v_add_co_ci_u32_e32 v26, vcc_lo, 0, v40, vcc_lo
	v_add_co_u32 v27, vcc_lo, 0x4000, v0
	v_add_co_ci_u32_e32 v28, vcc_lo, 0, v40, vcc_lo
	v_add_co_u32 v29, vcc_lo, 0x5000, v0
	v_add_co_ci_u32_e32 v30, vcc_lo, 0, v40, vcc_lo
	v_add_co_u32 v31, vcc_lo, v0, 0x6000
	v_add_co_ci_u32_e32 v32, vcc_lo, 0, v40, vcc_lo
	v_add_co_u32 v33, vcc_lo, 0x6000, v0
	v_add_co_ci_u32_e32 v34, vcc_lo, 0, v40, vcc_lo
	s_waitcnt vmcnt(10)
	global_store_b64 v[25:26], v[19:20], off offset:-4096
	s_waitcnt vmcnt(9)
	global_store_b64 v[25:26], v[15:16], off
	s_waitcnt vmcnt(8)
	global_store_b64 v[31:32], v[11:12], off offset:-4096
	s_waitcnt vmcnt(7)
	global_store_b64 v[31:32], v[7:8], off
	v_add_co_u32 v7, vcc_lo, 0x7000, v0
	v_add_co_ci_u32_e32 v8, vcc_lo, 0, v40, vcc_lo
	s_waitcnt vmcnt(6)
	global_store_b64 v[23:24], v[17:18], off offset:2048
	s_waitcnt vmcnt(5)
	global_store_b64 v[27:28], v[13:14], off offset:2048
	;; [unrolled: 2-line block ×4, first 2 shown]
	s_waitcnt vmcnt(2)
	global_store_b64 v[7:8], v[3:4], off
	s_waitcnt vmcnt(1)
	global_store_b64 v[36:37], v[21:22], off offset:-4096
	s_waitcnt vmcnt(0)
	global_store_b64 v[7:8], v[1:2], off offset:2048
	s_nop 0
	s_sendmsg sendmsg(MSG_DEALLOC_VGPRS)
	s_endpgm
	.section	.rodata,"a",@progbits
	.p2align	6, 0x0
	.amdhsa_kernel _Z6kernelI13subtract_leftLj256ELj16ELb1EJPdS1_jEEvDpT3_
		.amdhsa_group_segment_fixed_size 4096
		.amdhsa_private_segment_fixed_size 0
		.amdhsa_kernarg_size 20
		.amdhsa_user_sgpr_count 15
		.amdhsa_user_sgpr_dispatch_ptr 0
		.amdhsa_user_sgpr_queue_ptr 0
		.amdhsa_user_sgpr_kernarg_segment_ptr 1
		.amdhsa_user_sgpr_dispatch_id 0
		.amdhsa_user_sgpr_private_segment_size 0
		.amdhsa_wavefront_size32 1
		.amdhsa_uses_dynamic_stack 0
		.amdhsa_enable_private_segment 0
		.amdhsa_system_sgpr_workgroup_id_x 1
		.amdhsa_system_sgpr_workgroup_id_y 0
		.amdhsa_system_sgpr_workgroup_id_z 0
		.amdhsa_system_sgpr_workgroup_info 0
		.amdhsa_system_vgpr_workitem_id 0
		.amdhsa_next_free_vgpr 66
		.amdhsa_next_free_sgpr 16
		.amdhsa_reserve_vcc 1
		.amdhsa_float_round_mode_32 0
		.amdhsa_float_round_mode_16_64 0
		.amdhsa_float_denorm_mode_32 3
		.amdhsa_float_denorm_mode_16_64 3
		.amdhsa_dx10_clamp 1
		.amdhsa_ieee_mode 1
		.amdhsa_fp16_overflow 0
		.amdhsa_workgroup_processor_mode 1
		.amdhsa_memory_ordered 1
		.amdhsa_forward_progress 0
		.amdhsa_shared_vgpr_count 0
		.amdhsa_exception_fp_ieee_invalid_op 0
		.amdhsa_exception_fp_denorm_src 0
		.amdhsa_exception_fp_ieee_div_zero 0
		.amdhsa_exception_fp_ieee_overflow 0
		.amdhsa_exception_fp_ieee_underflow 0
		.amdhsa_exception_fp_ieee_inexact 0
		.amdhsa_exception_int_div_zero 0
	.end_amdhsa_kernel
	.section	.text._Z6kernelI13subtract_leftLj256ELj16ELb1EJPdS1_jEEvDpT3_,"axG",@progbits,_Z6kernelI13subtract_leftLj256ELj16ELb1EJPdS1_jEEvDpT3_,comdat
.Lfunc_end58:
	.size	_Z6kernelI13subtract_leftLj256ELj16ELb1EJPdS1_jEEvDpT3_, .Lfunc_end58-_Z6kernelI13subtract_leftLj256ELj16ELb1EJPdS1_jEEvDpT3_
                                        ; -- End function
	.section	.AMDGPU.csdata,"",@progbits
; Kernel info:
; codeLenInByte = 1136
; NumSgprs: 18
; NumVgprs: 66
; ScratchSize: 0
; MemoryBound: 0
; FloatMode: 240
; IeeeMode: 1
; LDSByteSize: 4096 bytes/workgroup (compile time only)
; SGPRBlocks: 2
; VGPRBlocks: 8
; NumSGPRsForWavesPerEU: 18
; NumVGPRsForWavesPerEU: 66
; Occupancy: 16
; WaveLimiterHint : 1
; COMPUTE_PGM_RSRC2:SCRATCH_EN: 0
; COMPUTE_PGM_RSRC2:USER_SGPR: 15
; COMPUTE_PGM_RSRC2:TRAP_HANDLER: 0
; COMPUTE_PGM_RSRC2:TGID_X_EN: 1
; COMPUTE_PGM_RSRC2:TGID_Y_EN: 0
; COMPUTE_PGM_RSRC2:TGID_Z_EN: 0
; COMPUTE_PGM_RSRC2:TIDIG_COMP_CNT: 0
	.section	.text._Z6kernelI13subtract_leftLj256ELj32ELb1EJPdS1_jEEvDpT3_,"axG",@progbits,_Z6kernelI13subtract_leftLj256ELj32ELb1EJPdS1_jEEvDpT3_,comdat
	.protected	_Z6kernelI13subtract_leftLj256ELj32ELb1EJPdS1_jEEvDpT3_ ; -- Begin function _Z6kernelI13subtract_leftLj256ELj32ELb1EJPdS1_jEEvDpT3_
	.globl	_Z6kernelI13subtract_leftLj256ELj32ELb1EJPdS1_jEEvDpT3_
	.p2align	8
	.type	_Z6kernelI13subtract_leftLj256ELj32ELb1EJPdS1_jEEvDpT3_,@function
_Z6kernelI13subtract_leftLj256ELj32ELb1EJPdS1_jEEvDpT3_: ; @_Z6kernelI13subtract_leftLj256ELj32ELb1EJPdS1_jEEvDpT3_
; %bb.0:
	s_load_b128 s[4:7], s[0:1], 0x0
	s_mov_b32 s3, 0
	s_lshl_b32 s2, s15, 13
	v_lshlrev_b32_e32 v67, 3, v0
	s_lshl_b64 s[2:3], s[2:3], 3
	s_load_b32 s0, s[0:1], 0x10
	s_waitcnt lgkmcnt(0)
	s_add_u32 s4, s4, s2
	s_addc_u32 s5, s5, s3
	v_add_co_u32 v13, s1, s4, v67
	s_delay_alu instid0(VALU_DEP_1) | instskip(SKIP_1) | instid1(VALU_DEP_2)
	v_add_co_ci_u32_e64 v14, null, s5, 0, s1
	s_cmp_eq_u32 s0, 0
	v_add_co_u32 v1, vcc_lo, 0x1000, v13
	s_delay_alu instid0(VALU_DEP_2)
	v_add_co_ci_u32_e32 v2, vcc_lo, 0, v14, vcc_lo
	v_add_co_u32 v53, vcc_lo, v13, 0x2000
	v_add_co_ci_u32_e32 v54, vcc_lo, 0, v14, vcc_lo
	v_add_co_u32 v3, vcc_lo, 0x2000, v13
	v_add_co_ci_u32_e32 v4, vcc_lo, 0, v14, vcc_lo
	v_add_co_u32 v5, vcc_lo, 0x3000, v13
	v_add_co_ci_u32_e32 v6, vcc_lo, 0, v14, vcc_lo
	s_clause 0x4
	global_load_b64 v[57:58], v[53:54], off
	global_load_b64 v[63:64], v67, s[4:5]
	global_load_b64 v[61:62], v67, s[4:5] offset:2048
	global_load_b64 v[59:60], v[1:2], off offset:2048
	global_load_b64 v[55:56], v[3:4], off offset:2048
	v_add_co_u32 v1, vcc_lo, v13, 0x4000
	v_add_co_ci_u32_e32 v2, vcc_lo, 0, v14, vcc_lo
	v_add_co_u32 v3, vcc_lo, 0x4000, v13
	v_add_co_ci_u32_e32 v4, vcc_lo, 0, v14, vcc_lo
	;; [unrolled: 2-line block ×5, first 2 shown]
	s_clause 0x7
	global_load_b64 v[51:52], v[1:2], off offset:-4096
	global_load_b64 v[47:48], v[1:2], off
	global_load_b64 v[43:44], v[9:10], off offset:-4096
	global_load_b64 v[39:40], v[9:10], off
	global_load_b64 v[49:50], v[5:6], off offset:2048
	global_load_b64 v[45:46], v[3:4], off offset:2048
	;; [unrolled: 1-line block ×4, first 2 shown]
	v_add_co_u32 v1, vcc_lo, 0x7000, v13
	v_add_co_ci_u32_e32 v2, vcc_lo, 0, v14, vcc_lo
	v_add_co_u32 v3, vcc_lo, v13, 0x8000
	v_add_co_ci_u32_e32 v4, vcc_lo, 0, v14, vcc_lo
	;; [unrolled: 2-line block ×6, first 2 shown]
	s_clause 0x7
	global_load_b64 v[35:36], v[3:4], off offset:-4096
	global_load_b64 v[31:32], v[3:4], off
	global_load_b64 v[27:28], v[9:10], off offset:-4096
	global_load_b64 v[23:24], v[9:10], off
	global_load_b64 v[33:34], v[1:2], off offset:2048
	global_load_b64 v[29:30], v[5:6], off offset:2048
	;; [unrolled: 1-line block ×4, first 2 shown]
	v_add_co_u32 v1, vcc_lo, 0xb000, v13
	v_add_co_ci_u32_e32 v2, vcc_lo, 0, v14, vcc_lo
	v_add_co_u32 v3, vcc_lo, v13, 0xc000
	v_add_co_ci_u32_e32 v4, vcc_lo, 0, v14, vcc_lo
	;; [unrolled: 2-line block ×7, first 2 shown]
	s_clause 0xa
	global_load_b64 v[19:20], v[3:4], off offset:-4096
	global_load_b64 v[15:16], v[3:4], off
	global_load_b64 v[11:12], v[7:8], off offset:-4096
	global_load_b64 v[7:8], v[7:8], off
	global_load_b64 v[17:18], v[1:2], off offset:2048
	global_load_b64 v[13:14], v[5:6], off offset:2048
	;; [unrolled: 1-line block ×4, first 2 shown]
	global_load_b64 v[3:4], v[68:69], off
	global_load_b64 v[53:54], v[53:54], off offset:-4096
	global_load_b64 v[1:2], v[68:69], off offset:2048
	s_cbranch_scc1 .LBB59_5
; %bb.1:
	v_cmp_ne_u32_e32 vcc_lo, 0, v0
	v_add_nc_u32_e32 v0, -8, v67
	s_branch .LBB59_3
.LBB59_2:                               ;   in Loop: Header=BB59_3 Depth=1
	s_or_b32 exec_lo, exec_lo, s1
	s_waitcnt lgkmcnt(0)
	v_add_f64 v[65:66], v[63:64], -v[65:66]
	v_add_f64 v[68:69], v[61:62], -v[63:64]
	;; [unrolled: 1-line block ×14, first 2 shown]
	s_add_i32 s0, s0, -1
	s_delay_alu instid0(SALU_CYCLE_1)
	s_cmp_lg_u32 s0, 0
	s_barrier
	buffer_gl0_inv
	v_add_f64 v[63:64], v[63:64], v[65:66]
	v_add_f64 v[65:66], v[35:36], -v[37:38]
	v_add_f64 v[61:62], v[61:62], v[68:69]
	v_add_f64 v[68:69], v[33:34], -v[35:36]
	;; [unrolled: 2-line block ×18, first 2 shown]
	v_add_f64 v[3:4], v[3:4], v[74:75]
	v_add_f64 v[7:8], v[7:8], v[76:77]
	;; [unrolled: 1-line block ×14, first 2 shown]
	s_cbranch_scc0 .LBB59_5
.LBB59_3:                               ; =>This Inner Loop Header: Depth=1
	v_mov_b32_e32 v65, 0
	v_mov_b32_e32 v66, 0x405ec000
	s_waitcnt vmcnt(0)
	ds_store_b64 v67, v[1:2]
	s_waitcnt lgkmcnt(0)
	s_barrier
	buffer_gl0_inv
	s_and_saveexec_b32 s1, vcc_lo
	s_cbranch_execz .LBB59_2
; %bb.4:                                ;   in Loop: Header=BB59_3 Depth=1
	ds_load_b64 v[65:66], v0
	s_branch .LBB59_2
.LBB59_5:
	s_add_u32 s0, s6, s2
	s_addc_u32 s1, s7, s3
	v_add_co_u32 v0, s2, s0, v67
	s_delay_alu instid0(VALU_DEP_1) | instskip(NEXT) | instid1(VALU_DEP_2)
	v_add_co_ci_u32_e64 v72, null, s1, 0, s2
	v_add_co_u32 v65, vcc_lo, 0x1000, v0
	s_delay_alu instid0(VALU_DEP_2)
	v_add_co_ci_u32_e32 v66, vcc_lo, 0, v72, vcc_lo
	v_add_co_u32 v68, vcc_lo, v0, 0x2000
	v_add_co_ci_u32_e32 v69, vcc_lo, 0, v72, vcc_lo
	v_add_co_u32 v70, vcc_lo, 0x2000, v0
	v_add_co_ci_u32_e32 v71, vcc_lo, 0, v72, vcc_lo
	s_waitcnt vmcnt(31)
	global_store_b64 v[68:69], v[57:58], off
	s_waitcnt vmcnt(30)
	global_store_b64 v67, v[63:64], s[0:1]
	s_waitcnt vmcnt(29)
	global_store_b64 v67, v[61:62], s[0:1] offset:2048
	s_waitcnt vmcnt(28)
	global_store_b64 v[65:66], v[59:60], off offset:2048
	s_waitcnt vmcnt(27)
	global_store_b64 v[70:71], v[55:56], off offset:2048
	v_add_co_u32 v55, vcc_lo, 0x3000, v0
	v_add_co_ci_u32_e32 v56, vcc_lo, 0, v72, vcc_lo
	v_add_co_u32 v57, vcc_lo, v0, 0x4000
	v_add_co_ci_u32_e32 v58, vcc_lo, 0, v72, vcc_lo
	;; [unrolled: 2-line block ×6, first 2 shown]
	s_waitcnt vmcnt(26)
	global_store_b64 v[57:58], v[51:52], off offset:-4096
	s_waitcnt vmcnt(25)
	global_store_b64 v[57:58], v[47:48], off
	s_waitcnt vmcnt(24)
	global_store_b64 v[63:64], v[43:44], off offset:-4096
	s_waitcnt vmcnt(23)
	global_store_b64 v[63:64], v[39:40], off
	s_waitcnt vmcnt(22)
	global_store_b64 v[55:56], v[49:50], off offset:2048
	s_waitcnt vmcnt(21)
	global_store_b64 v[59:60], v[45:46], off offset:2048
	;; [unrolled: 2-line block ×4, first 2 shown]
	v_add_co_u32 v37, vcc_lo, 0x7000, v0
	v_add_co_ci_u32_e32 v38, vcc_lo, 0, v72, vcc_lo
	v_add_co_u32 v39, vcc_lo, v0, 0x8000
	v_add_co_ci_u32_e32 v40, vcc_lo, 0, v72, vcc_lo
	;; [unrolled: 2-line block ×6, first 2 shown]
	s_waitcnt vmcnt(18)
	global_store_b64 v[39:40], v[35:36], off offset:-4096
	s_waitcnt vmcnt(17)
	global_store_b64 v[39:40], v[31:32], off
	s_waitcnt vmcnt(16)
	global_store_b64 v[45:46], v[27:28], off offset:-4096
	s_waitcnt vmcnt(15)
	global_store_b64 v[45:46], v[23:24], off
	s_waitcnt vmcnt(14)
	global_store_b64 v[37:38], v[33:34], off offset:2048
	s_waitcnt vmcnt(13)
	global_store_b64 v[41:42], v[29:30], off offset:2048
	;; [unrolled: 2-line block ×4, first 2 shown]
	v_add_co_u32 v21, vcc_lo, 0xb000, v0
	v_add_co_ci_u32_e32 v22, vcc_lo, 0, v72, vcc_lo
	v_add_co_u32 v23, vcc_lo, v0, 0xc000
	v_add_co_ci_u32_e32 v24, vcc_lo, 0, v72, vcc_lo
	;; [unrolled: 2-line block ×6, first 2 shown]
	s_waitcnt vmcnt(10)
	global_store_b64 v[23:24], v[19:20], off offset:-4096
	s_waitcnt vmcnt(9)
	global_store_b64 v[23:24], v[15:16], off
	s_waitcnt vmcnt(8)
	global_store_b64 v[29:30], v[11:12], off offset:-4096
	s_waitcnt vmcnt(7)
	global_store_b64 v[29:30], v[7:8], off
	v_add_co_u32 v7, vcc_lo, 0xf000, v0
	v_add_co_ci_u32_e32 v8, vcc_lo, 0, v72, vcc_lo
	s_waitcnt vmcnt(6)
	global_store_b64 v[21:22], v[17:18], off offset:2048
	s_waitcnt vmcnt(5)
	global_store_b64 v[25:26], v[13:14], off offset:2048
	;; [unrolled: 2-line block ×4, first 2 shown]
	s_waitcnt vmcnt(2)
	global_store_b64 v[7:8], v[3:4], off
	s_waitcnt vmcnt(1)
	global_store_b64 v[68:69], v[53:54], off offset:-4096
	s_waitcnt vmcnt(0)
	global_store_b64 v[7:8], v[1:2], off offset:2048
	s_nop 0
	s_sendmsg sendmsg(MSG_DEALLOC_VGPRS)
	s_endpgm
	.section	.rodata,"a",@progbits
	.p2align	6, 0x0
	.amdhsa_kernel _Z6kernelI13subtract_leftLj256ELj32ELb1EJPdS1_jEEvDpT3_
		.amdhsa_group_segment_fixed_size 4096
		.amdhsa_private_segment_fixed_size 0
		.amdhsa_kernarg_size 20
		.amdhsa_user_sgpr_count 15
		.amdhsa_user_sgpr_dispatch_ptr 0
		.amdhsa_user_sgpr_queue_ptr 0
		.amdhsa_user_sgpr_kernarg_segment_ptr 1
		.amdhsa_user_sgpr_dispatch_id 0
		.amdhsa_user_sgpr_private_segment_size 0
		.amdhsa_wavefront_size32 1
		.amdhsa_uses_dynamic_stack 0
		.amdhsa_enable_private_segment 0
		.amdhsa_system_sgpr_workgroup_id_x 1
		.amdhsa_system_sgpr_workgroup_id_y 0
		.amdhsa_system_sgpr_workgroup_id_z 0
		.amdhsa_system_sgpr_workgroup_info 0
		.amdhsa_system_vgpr_workitem_id 0
		.amdhsa_next_free_vgpr 94
		.amdhsa_next_free_sgpr 16
		.amdhsa_reserve_vcc 1
		.amdhsa_float_round_mode_32 0
		.amdhsa_float_round_mode_16_64 0
		.amdhsa_float_denorm_mode_32 3
		.amdhsa_float_denorm_mode_16_64 3
		.amdhsa_dx10_clamp 1
		.amdhsa_ieee_mode 1
		.amdhsa_fp16_overflow 0
		.amdhsa_workgroup_processor_mode 1
		.amdhsa_memory_ordered 1
		.amdhsa_forward_progress 0
		.amdhsa_shared_vgpr_count 0
		.amdhsa_exception_fp_ieee_invalid_op 0
		.amdhsa_exception_fp_denorm_src 0
		.amdhsa_exception_fp_ieee_div_zero 0
		.amdhsa_exception_fp_ieee_overflow 0
		.amdhsa_exception_fp_ieee_underflow 0
		.amdhsa_exception_fp_ieee_inexact 0
		.amdhsa_exception_int_div_zero 0
	.end_amdhsa_kernel
	.section	.text._Z6kernelI13subtract_leftLj256ELj32ELb1EJPdS1_jEEvDpT3_,"axG",@progbits,_Z6kernelI13subtract_leftLj256ELj32ELb1EJPdS1_jEEvDpT3_,comdat
.Lfunc_end59:
	.size	_Z6kernelI13subtract_leftLj256ELj32ELb1EJPdS1_jEEvDpT3_, .Lfunc_end59-_Z6kernelI13subtract_leftLj256ELj32ELb1EJPdS1_jEEvDpT3_
                                        ; -- End function
	.section	.AMDGPU.csdata,"",@progbits
; Kernel info:
; codeLenInByte = 2100
; NumSgprs: 18
; NumVgprs: 94
; ScratchSize: 0
; MemoryBound: 0
; FloatMode: 240
; IeeeMode: 1
; LDSByteSize: 4096 bytes/workgroup (compile time only)
; SGPRBlocks: 2
; VGPRBlocks: 11
; NumSGPRsForWavesPerEU: 18
; NumVGPRsForWavesPerEU: 94
; Occupancy: 16
; WaveLimiterHint : 1
; COMPUTE_PGM_RSRC2:SCRATCH_EN: 0
; COMPUTE_PGM_RSRC2:USER_SGPR: 15
; COMPUTE_PGM_RSRC2:TRAP_HANDLER: 0
; COMPUTE_PGM_RSRC2:TGID_X_EN: 1
; COMPUTE_PGM_RSRC2:TGID_Y_EN: 0
; COMPUTE_PGM_RSRC2:TGID_Z_EN: 0
; COMPUTE_PGM_RSRC2:TIDIG_COMP_CNT: 0
	.section	.text._Z6kernelI14subtract_rightLj256ELj1ELb0EJPiS1_jEEvDpT3_,"axG",@progbits,_Z6kernelI14subtract_rightLj256ELj1ELb0EJPiS1_jEEvDpT3_,comdat
	.protected	_Z6kernelI14subtract_rightLj256ELj1ELb0EJPiS1_jEEvDpT3_ ; -- Begin function _Z6kernelI14subtract_rightLj256ELj1ELb0EJPiS1_jEEvDpT3_
	.globl	_Z6kernelI14subtract_rightLj256ELj1ELb0EJPiS1_jEEvDpT3_
	.p2align	8
	.type	_Z6kernelI14subtract_rightLj256ELj1ELb0EJPiS1_jEEvDpT3_,@function
_Z6kernelI14subtract_rightLj256ELj1ELb0EJPiS1_jEEvDpT3_: ; @_Z6kernelI14subtract_rightLj256ELj1ELb0EJPiS1_jEEvDpT3_
; %bb.0:
	s_load_b128 s[4:7], s[0:1], 0x0
	s_lshl_b32 s2, s15, 8
	s_mov_b32 s3, 0
	v_lshlrev_b32_e32 v1, 2, v0
	s_lshl_b64 s[2:3], s[2:3], 2
	s_load_b32 s0, s[0:1], 0x10
	s_waitcnt lgkmcnt(0)
	s_add_u32 s4, s4, s2
	s_addc_u32 s5, s5, s3
	global_load_b32 v2, v1, s[4:5]
	s_cmp_eq_u32 s0, 0
	s_cbranch_scc1 .LBB60_5
; %bb.1:
	v_cmp_ne_u32_e32 vcc_lo, 0xff, v0
	v_or_b32_e32 v0, 0x400, v1
	s_branch .LBB60_3
.LBB60_2:                               ;   in Loop: Header=BB60_3 Depth=1
	s_or_b32 exec_lo, exec_lo, s1
	s_delay_alu instid0(VALU_DEP_1) | instskip(SKIP_1) | instid1(SALU_CYCLE_1)
	v_add_nc_u32_e32 v2, v3, v2
	s_add_i32 s0, s0, -1
	s_cmp_lg_u32 s0, 0
	s_barrier
	buffer_gl0_inv
	s_cbranch_scc0 .LBB60_5
.LBB60_3:                               ; =>This Inner Loop Header: Depth=1
	s_waitcnt vmcnt(0)
	v_mov_b32_e32 v3, v2
	ds_store_b32 v1, v2 offset:1024
	s_waitcnt lgkmcnt(0)
	s_barrier
	buffer_gl0_inv
	s_and_saveexec_b32 s1, vcc_lo
	s_cbranch_execz .LBB60_2
; %bb.4:                                ;   in Loop: Header=BB60_3 Depth=1
	ds_load_b32 v3, v0 offset:4
	s_waitcnt lgkmcnt(0)
	v_sub_nc_u32_e32 v3, v2, v3
	s_branch .LBB60_2
.LBB60_5:
	s_add_u32 s0, s6, s2
	s_addc_u32 s1, s7, s3
	s_waitcnt vmcnt(0)
	global_store_b32 v1, v2, s[0:1]
	s_nop 0
	s_sendmsg sendmsg(MSG_DEALLOC_VGPRS)
	s_endpgm
	.section	.rodata,"a",@progbits
	.p2align	6, 0x0
	.amdhsa_kernel _Z6kernelI14subtract_rightLj256ELj1ELb0EJPiS1_jEEvDpT3_
		.amdhsa_group_segment_fixed_size 2048
		.amdhsa_private_segment_fixed_size 0
		.amdhsa_kernarg_size 20
		.amdhsa_user_sgpr_count 15
		.amdhsa_user_sgpr_dispatch_ptr 0
		.amdhsa_user_sgpr_queue_ptr 0
		.amdhsa_user_sgpr_kernarg_segment_ptr 1
		.amdhsa_user_sgpr_dispatch_id 0
		.amdhsa_user_sgpr_private_segment_size 0
		.amdhsa_wavefront_size32 1
		.amdhsa_uses_dynamic_stack 0
		.amdhsa_enable_private_segment 0
		.amdhsa_system_sgpr_workgroup_id_x 1
		.amdhsa_system_sgpr_workgroup_id_y 0
		.amdhsa_system_sgpr_workgroup_id_z 0
		.amdhsa_system_sgpr_workgroup_info 0
		.amdhsa_system_vgpr_workitem_id 0
		.amdhsa_next_free_vgpr 4
		.amdhsa_next_free_sgpr 16
		.amdhsa_reserve_vcc 1
		.amdhsa_float_round_mode_32 0
		.amdhsa_float_round_mode_16_64 0
		.amdhsa_float_denorm_mode_32 3
		.amdhsa_float_denorm_mode_16_64 3
		.amdhsa_dx10_clamp 1
		.amdhsa_ieee_mode 1
		.amdhsa_fp16_overflow 0
		.amdhsa_workgroup_processor_mode 1
		.amdhsa_memory_ordered 1
		.amdhsa_forward_progress 0
		.amdhsa_shared_vgpr_count 0
		.amdhsa_exception_fp_ieee_invalid_op 0
		.amdhsa_exception_fp_denorm_src 0
		.amdhsa_exception_fp_ieee_div_zero 0
		.amdhsa_exception_fp_ieee_overflow 0
		.amdhsa_exception_fp_ieee_underflow 0
		.amdhsa_exception_fp_ieee_inexact 0
		.amdhsa_exception_int_div_zero 0
	.end_amdhsa_kernel
	.section	.text._Z6kernelI14subtract_rightLj256ELj1ELb0EJPiS1_jEEvDpT3_,"axG",@progbits,_Z6kernelI14subtract_rightLj256ELj1ELb0EJPiS1_jEEvDpT3_,comdat
.Lfunc_end60:
	.size	_Z6kernelI14subtract_rightLj256ELj1ELb0EJPiS1_jEEvDpT3_, .Lfunc_end60-_Z6kernelI14subtract_rightLj256ELj1ELb0EJPiS1_jEEvDpT3_
                                        ; -- End function
	.section	.AMDGPU.csdata,"",@progbits
; Kernel info:
; codeLenInByte = 208
; NumSgprs: 18
; NumVgprs: 4
; ScratchSize: 0
; MemoryBound: 0
; FloatMode: 240
; IeeeMode: 1
; LDSByteSize: 2048 bytes/workgroup (compile time only)
; SGPRBlocks: 2
; VGPRBlocks: 0
; NumSGPRsForWavesPerEU: 18
; NumVGPRsForWavesPerEU: 4
; Occupancy: 16
; WaveLimiterHint : 0
; COMPUTE_PGM_RSRC2:SCRATCH_EN: 0
; COMPUTE_PGM_RSRC2:USER_SGPR: 15
; COMPUTE_PGM_RSRC2:TRAP_HANDLER: 0
; COMPUTE_PGM_RSRC2:TGID_X_EN: 1
; COMPUTE_PGM_RSRC2:TGID_Y_EN: 0
; COMPUTE_PGM_RSRC2:TGID_Z_EN: 0
; COMPUTE_PGM_RSRC2:TIDIG_COMP_CNT: 0
	.section	.text._Z6kernelI14subtract_rightLj256ELj3ELb0EJPiS1_jEEvDpT3_,"axG",@progbits,_Z6kernelI14subtract_rightLj256ELj3ELb0EJPiS1_jEEvDpT3_,comdat
	.protected	_Z6kernelI14subtract_rightLj256ELj3ELb0EJPiS1_jEEvDpT3_ ; -- Begin function _Z6kernelI14subtract_rightLj256ELj3ELb0EJPiS1_jEEvDpT3_
	.globl	_Z6kernelI14subtract_rightLj256ELj3ELb0EJPiS1_jEEvDpT3_
	.p2align	8
	.type	_Z6kernelI14subtract_rightLj256ELj3ELb0EJPiS1_jEEvDpT3_,@function
_Z6kernelI14subtract_rightLj256ELj3ELb0EJPiS1_jEEvDpT3_: ; @_Z6kernelI14subtract_rightLj256ELj3ELb0EJPiS1_jEEvDpT3_
; %bb.0:
	s_load_b128 s[4:7], s[0:1], 0x0
	s_mov_b32 s3, 0
	s_mul_i32 s2, s15, 0x300
	v_lshlrev_b32_e32 v1, 2, v0
	s_lshl_b64 s[2:3], s[2:3], 2
	s_load_b32 s0, s[0:1], 0x10
	s_waitcnt lgkmcnt(0)
	s_add_u32 s4, s4, s2
	s_addc_u32 s5, s5, s3
	s_clause 0x2
	global_load_b32 v4, v1, s[4:5]
	global_load_b32 v3, v1, s[4:5] offset:1024
	global_load_b32 v2, v1, s[4:5] offset:2048
	s_cmp_eq_u32 s0, 0
	s_cbranch_scc1 .LBB61_5
; %bb.1:
	v_cmp_ne_u32_e32 vcc_lo, 0xff, v0
	v_or_b32_e32 v0, 0x400, v1
	s_branch .LBB61_3
	.p2align	6
.LBB61_2:                               ;   in Loop: Header=BB61_3 Depth=1
	s_or_b32 exec_lo, exec_lo, s1
	v_sub_nc_u32_e32 v6, v4, v3
	v_sub_nc_u32_e32 v7, v3, v2
	v_add_nc_u32_e32 v2, v5, v2
	s_add_i32 s0, s0, -1
	s_delay_alu instid0(VALU_DEP_3) | instskip(NEXT) | instid1(VALU_DEP_3)
	v_add_nc_u32_e32 v4, v6, v4
	v_add_nc_u32_e32 v3, v7, v3
	s_cmp_lg_u32 s0, 0
	s_barrier
	buffer_gl0_inv
	s_cbranch_scc0 .LBB61_5
.LBB61_3:                               ; =>This Inner Loop Header: Depth=1
	s_waitcnt vmcnt(0)
	v_mov_b32_e32 v5, v2
	ds_store_b32 v1, v4 offset:1024
	s_waitcnt lgkmcnt(0)
	s_barrier
	buffer_gl0_inv
	s_and_saveexec_b32 s1, vcc_lo
	s_cbranch_execz .LBB61_2
; %bb.4:                                ;   in Loop: Header=BB61_3 Depth=1
	ds_load_b32 v5, v0 offset:4
	s_waitcnt lgkmcnt(0)
	v_sub_nc_u32_e32 v5, v2, v5
	s_branch .LBB61_2
.LBB61_5:
	s_add_u32 s0, s6, s2
	s_addc_u32 s1, s7, s3
	s_waitcnt vmcnt(2)
	global_store_b32 v1, v4, s[0:1]
	s_waitcnt vmcnt(1)
	global_store_b32 v1, v3, s[0:1] offset:1024
	s_waitcnt vmcnt(0)
	global_store_b32 v1, v2, s[0:1] offset:2048
	s_nop 0
	s_sendmsg sendmsg(MSG_DEALLOC_VGPRS)
	s_endpgm
	.section	.rodata,"a",@progbits
	.p2align	6, 0x0
	.amdhsa_kernel _Z6kernelI14subtract_rightLj256ELj3ELb0EJPiS1_jEEvDpT3_
		.amdhsa_group_segment_fixed_size 2048
		.amdhsa_private_segment_fixed_size 0
		.amdhsa_kernarg_size 20
		.amdhsa_user_sgpr_count 15
		.amdhsa_user_sgpr_dispatch_ptr 0
		.amdhsa_user_sgpr_queue_ptr 0
		.amdhsa_user_sgpr_kernarg_segment_ptr 1
		.amdhsa_user_sgpr_dispatch_id 0
		.amdhsa_user_sgpr_private_segment_size 0
		.amdhsa_wavefront_size32 1
		.amdhsa_uses_dynamic_stack 0
		.amdhsa_enable_private_segment 0
		.amdhsa_system_sgpr_workgroup_id_x 1
		.amdhsa_system_sgpr_workgroup_id_y 0
		.amdhsa_system_sgpr_workgroup_id_z 0
		.amdhsa_system_sgpr_workgroup_info 0
		.amdhsa_system_vgpr_workitem_id 0
		.amdhsa_next_free_vgpr 8
		.amdhsa_next_free_sgpr 16
		.amdhsa_reserve_vcc 1
		.amdhsa_float_round_mode_32 0
		.amdhsa_float_round_mode_16_64 0
		.amdhsa_float_denorm_mode_32 3
		.amdhsa_float_denorm_mode_16_64 3
		.amdhsa_dx10_clamp 1
		.amdhsa_ieee_mode 1
		.amdhsa_fp16_overflow 0
		.amdhsa_workgroup_processor_mode 1
		.amdhsa_memory_ordered 1
		.amdhsa_forward_progress 0
		.amdhsa_shared_vgpr_count 0
		.amdhsa_exception_fp_ieee_invalid_op 0
		.amdhsa_exception_fp_denorm_src 0
		.amdhsa_exception_fp_ieee_div_zero 0
		.amdhsa_exception_fp_ieee_overflow 0
		.amdhsa_exception_fp_ieee_underflow 0
		.amdhsa_exception_fp_ieee_inexact 0
		.amdhsa_exception_int_div_zero 0
	.end_amdhsa_kernel
	.section	.text._Z6kernelI14subtract_rightLj256ELj3ELb0EJPiS1_jEEvDpT3_,"axG",@progbits,_Z6kernelI14subtract_rightLj256ELj3ELb0EJPiS1_jEEvDpT3_,comdat
.Lfunc_end61:
	.size	_Z6kernelI14subtract_rightLj256ELj3ELb0EJPiS1_jEEvDpT3_, .Lfunc_end61-_Z6kernelI14subtract_rightLj256ELj3ELb0EJPiS1_jEEvDpT3_
                                        ; -- End function
	.section	.AMDGPU.csdata,"",@progbits
; Kernel info:
; codeLenInByte = 272
; NumSgprs: 18
; NumVgprs: 8
; ScratchSize: 0
; MemoryBound: 0
; FloatMode: 240
; IeeeMode: 1
; LDSByteSize: 2048 bytes/workgroup (compile time only)
; SGPRBlocks: 2
; VGPRBlocks: 0
; NumSGPRsForWavesPerEU: 18
; NumVGPRsForWavesPerEU: 8
; Occupancy: 16
; WaveLimiterHint : 1
; COMPUTE_PGM_RSRC2:SCRATCH_EN: 0
; COMPUTE_PGM_RSRC2:USER_SGPR: 15
; COMPUTE_PGM_RSRC2:TRAP_HANDLER: 0
; COMPUTE_PGM_RSRC2:TGID_X_EN: 1
; COMPUTE_PGM_RSRC2:TGID_Y_EN: 0
; COMPUTE_PGM_RSRC2:TGID_Z_EN: 0
; COMPUTE_PGM_RSRC2:TIDIG_COMP_CNT: 0
	.section	.text._Z6kernelI14subtract_rightLj256ELj4ELb0EJPiS1_jEEvDpT3_,"axG",@progbits,_Z6kernelI14subtract_rightLj256ELj4ELb0EJPiS1_jEEvDpT3_,comdat
	.protected	_Z6kernelI14subtract_rightLj256ELj4ELb0EJPiS1_jEEvDpT3_ ; -- Begin function _Z6kernelI14subtract_rightLj256ELj4ELb0EJPiS1_jEEvDpT3_
	.globl	_Z6kernelI14subtract_rightLj256ELj4ELb0EJPiS1_jEEvDpT3_
	.p2align	8
	.type	_Z6kernelI14subtract_rightLj256ELj4ELb0EJPiS1_jEEvDpT3_,@function
_Z6kernelI14subtract_rightLj256ELj4ELb0EJPiS1_jEEvDpT3_: ; @_Z6kernelI14subtract_rightLj256ELj4ELb0EJPiS1_jEEvDpT3_
; %bb.0:
	s_load_b128 s[4:7], s[0:1], 0x0
	s_mov_b32 s3, 0
	s_lshl_b32 s2, s15, 10
	v_lshlrev_b32_e32 v1, 2, v0
	s_lshl_b64 s[2:3], s[2:3], 2
	s_load_b32 s0, s[0:1], 0x10
	s_waitcnt lgkmcnt(0)
	s_add_u32 s4, s4, s2
	s_addc_u32 s5, s5, s3
	s_clause 0x3
	global_load_b32 v5, v1, s[4:5]
	global_load_b32 v4, v1, s[4:5] offset:1024
	global_load_b32 v3, v1, s[4:5] offset:2048
	global_load_b32 v2, v1, s[4:5] offset:3072
	s_cmp_eq_u32 s0, 0
	s_cbranch_scc1 .LBB62_5
; %bb.1:
	v_cmp_ne_u32_e32 vcc_lo, 0xff, v0
	v_or_b32_e32 v0, 0x400, v1
	s_branch .LBB62_3
	.p2align	6
.LBB62_2:                               ;   in Loop: Header=BB62_3 Depth=1
	s_or_b32 exec_lo, exec_lo, s1
	v_sub_nc_u32_e32 v7, v5, v4
	v_sub_nc_u32_e32 v8, v4, v3
	;; [unrolled: 1-line block ×3, first 2 shown]
	v_add_nc_u32_e32 v2, v6, v2
	s_add_i32 s0, s0, -1
	v_add_nc_u32_e32 v5, v7, v5
	v_add_nc_u32_e32 v4, v8, v4
	;; [unrolled: 1-line block ×3, first 2 shown]
	s_cmp_lg_u32 s0, 0
	s_barrier
	buffer_gl0_inv
	s_cbranch_scc0 .LBB62_5
.LBB62_3:                               ; =>This Inner Loop Header: Depth=1
	s_waitcnt vmcnt(0)
	v_mov_b32_e32 v6, v2
	ds_store_b32 v1, v5 offset:1024
	s_waitcnt lgkmcnt(0)
	s_barrier
	buffer_gl0_inv
	s_and_saveexec_b32 s1, vcc_lo
	s_cbranch_execz .LBB62_2
; %bb.4:                                ;   in Loop: Header=BB62_3 Depth=1
	ds_load_b32 v6, v0 offset:4
	s_waitcnt lgkmcnt(0)
	v_sub_nc_u32_e32 v6, v2, v6
	s_branch .LBB62_2
.LBB62_5:
	s_add_u32 s0, s6, s2
	s_addc_u32 s1, s7, s3
	s_waitcnt vmcnt(3)
	global_store_b32 v1, v5, s[0:1]
	s_waitcnt vmcnt(2)
	global_store_b32 v1, v4, s[0:1] offset:1024
	s_waitcnt vmcnt(1)
	global_store_b32 v1, v3, s[0:1] offset:2048
	;; [unrolled: 2-line block ×3, first 2 shown]
	s_nop 0
	s_sendmsg sendmsg(MSG_DEALLOC_VGPRS)
	s_endpgm
	.section	.rodata,"a",@progbits
	.p2align	6, 0x0
	.amdhsa_kernel _Z6kernelI14subtract_rightLj256ELj4ELb0EJPiS1_jEEvDpT3_
		.amdhsa_group_segment_fixed_size 2048
		.amdhsa_private_segment_fixed_size 0
		.amdhsa_kernarg_size 20
		.amdhsa_user_sgpr_count 15
		.amdhsa_user_sgpr_dispatch_ptr 0
		.amdhsa_user_sgpr_queue_ptr 0
		.amdhsa_user_sgpr_kernarg_segment_ptr 1
		.amdhsa_user_sgpr_dispatch_id 0
		.amdhsa_user_sgpr_private_segment_size 0
		.amdhsa_wavefront_size32 1
		.amdhsa_uses_dynamic_stack 0
		.amdhsa_enable_private_segment 0
		.amdhsa_system_sgpr_workgroup_id_x 1
		.amdhsa_system_sgpr_workgroup_id_y 0
		.amdhsa_system_sgpr_workgroup_id_z 0
		.amdhsa_system_sgpr_workgroup_info 0
		.amdhsa_system_vgpr_workitem_id 0
		.amdhsa_next_free_vgpr 10
		.amdhsa_next_free_sgpr 16
		.amdhsa_reserve_vcc 1
		.amdhsa_float_round_mode_32 0
		.amdhsa_float_round_mode_16_64 0
		.amdhsa_float_denorm_mode_32 3
		.amdhsa_float_denorm_mode_16_64 3
		.amdhsa_dx10_clamp 1
		.amdhsa_ieee_mode 1
		.amdhsa_fp16_overflow 0
		.amdhsa_workgroup_processor_mode 1
		.amdhsa_memory_ordered 1
		.amdhsa_forward_progress 0
		.amdhsa_shared_vgpr_count 0
		.amdhsa_exception_fp_ieee_invalid_op 0
		.amdhsa_exception_fp_denorm_src 0
		.amdhsa_exception_fp_ieee_div_zero 0
		.amdhsa_exception_fp_ieee_overflow 0
		.amdhsa_exception_fp_ieee_underflow 0
		.amdhsa_exception_fp_ieee_inexact 0
		.amdhsa_exception_int_div_zero 0
	.end_amdhsa_kernel
	.section	.text._Z6kernelI14subtract_rightLj256ELj4ELb0EJPiS1_jEEvDpT3_,"axG",@progbits,_Z6kernelI14subtract_rightLj256ELj4ELb0EJPiS1_jEEvDpT3_,comdat
.Lfunc_end62:
	.size	_Z6kernelI14subtract_rightLj256ELj4ELb0EJPiS1_jEEvDpT3_, .Lfunc_end62-_Z6kernelI14subtract_rightLj256ELj4ELb0EJPiS1_jEEvDpT3_
                                        ; -- End function
	.section	.AMDGPU.csdata,"",@progbits
; Kernel info:
; codeLenInByte = 292
; NumSgprs: 18
; NumVgprs: 10
; ScratchSize: 0
; MemoryBound: 0
; FloatMode: 240
; IeeeMode: 1
; LDSByteSize: 2048 bytes/workgroup (compile time only)
; SGPRBlocks: 2
; VGPRBlocks: 1
; NumSGPRsForWavesPerEU: 18
; NumVGPRsForWavesPerEU: 10
; Occupancy: 16
; WaveLimiterHint : 1
; COMPUTE_PGM_RSRC2:SCRATCH_EN: 0
; COMPUTE_PGM_RSRC2:USER_SGPR: 15
; COMPUTE_PGM_RSRC2:TRAP_HANDLER: 0
; COMPUTE_PGM_RSRC2:TGID_X_EN: 1
; COMPUTE_PGM_RSRC2:TGID_Y_EN: 0
; COMPUTE_PGM_RSRC2:TGID_Z_EN: 0
; COMPUTE_PGM_RSRC2:TIDIG_COMP_CNT: 0
	.section	.text._Z6kernelI14subtract_rightLj256ELj8ELb0EJPiS1_jEEvDpT3_,"axG",@progbits,_Z6kernelI14subtract_rightLj256ELj8ELb0EJPiS1_jEEvDpT3_,comdat
	.protected	_Z6kernelI14subtract_rightLj256ELj8ELb0EJPiS1_jEEvDpT3_ ; -- Begin function _Z6kernelI14subtract_rightLj256ELj8ELb0EJPiS1_jEEvDpT3_
	.globl	_Z6kernelI14subtract_rightLj256ELj8ELb0EJPiS1_jEEvDpT3_
	.p2align	8
	.type	_Z6kernelI14subtract_rightLj256ELj8ELb0EJPiS1_jEEvDpT3_,@function
_Z6kernelI14subtract_rightLj256ELj8ELb0EJPiS1_jEEvDpT3_: ; @_Z6kernelI14subtract_rightLj256ELj8ELb0EJPiS1_jEEvDpT3_
; %bb.0:
	s_load_b128 s[4:7], s[0:1], 0x0
	s_mov_b32 s3, 0
	s_lshl_b32 s2, s15, 11
	v_lshlrev_b32_e32 v1, 2, v0
	s_lshl_b64 s[2:3], s[2:3], 2
	s_load_b32 s0, s[0:1], 0x10
	s_waitcnt lgkmcnt(0)
	s_add_u32 s4, s4, s2
	s_addc_u32 s5, s5, s3
	v_add_co_u32 v2, s1, s4, v1
	s_delay_alu instid0(VALU_DEP_1) | instskip(SKIP_1) | instid1(VALU_DEP_2)
	v_add_co_ci_u32_e64 v3, null, s5, 0, s1
	s_cmp_eq_u32 s0, 0
	v_add_co_u32 v10, vcc_lo, 0x1000, v2
	s_delay_alu instid0(VALU_DEP_2)
	v_add_co_ci_u32_e32 v11, vcc_lo, 0, v3, vcc_lo
	s_clause 0x7
	global_load_b32 v9, v1, s[4:5]
	global_load_b32 v7, v1, s[4:5] offset:1024
	global_load_b32 v8, v1, s[4:5] offset:2048
	global_load_b32 v6, v1, s[4:5] offset:3072
	global_load_b32 v5, v[10:11], off
	global_load_b32 v4, v[10:11], off offset:1024
	global_load_b32 v3, v[10:11], off offset:2048
	;; [unrolled: 1-line block ×3, first 2 shown]
	s_cbranch_scc1 .LBB63_5
; %bb.1:
	v_cmp_ne_u32_e32 vcc_lo, 0xff, v0
	v_or_b32_e32 v0, 0x400, v1
	s_set_inst_prefetch_distance 0x1
	s_branch .LBB63_3
	.p2align	6
.LBB63_2:                               ;   in Loop: Header=BB63_3 Depth=1
	s_or_b32 exec_lo, exec_lo, s1
	v_lshlrev_b32_e32 v9, 1, v9
	v_lshlrev_b32_e32 v11, 1, v7
	v_lshlrev_b32_e32 v12, 1, v8
	v_lshlrev_b32_e32 v13, 1, v6
	v_lshlrev_b32_e32 v14, 1, v4
	v_sub_nc_u32_e32 v9, v9, v7
	v_sub_nc_u32_e32 v7, v11, v8
	v_lshlrev_b32_e32 v11, 1, v5
	v_lshlrev_b32_e32 v15, 1, v3
	v_sub_nc_u32_e32 v8, v12, v6
	v_sub_nc_u32_e32 v6, v13, v5
	s_add_i32 s0, s0, -1
	v_sub_nc_u32_e32 v5, v11, v4
	v_sub_nc_u32_e32 v4, v14, v3
	;; [unrolled: 1-line block ×3, first 2 shown]
	v_add_nc_u32_e32 v2, v10, v2
	s_cmp_lg_u32 s0, 0
	s_barrier
	buffer_gl0_inv
	s_cbranch_scc0 .LBB63_5
.LBB63_3:                               ; =>This Inner Loop Header: Depth=1
	s_waitcnt vmcnt(0)
	v_mov_b32_e32 v10, v2
	ds_store_b32 v1, v9 offset:1024
	s_waitcnt lgkmcnt(0)
	s_barrier
	buffer_gl0_inv
	s_and_saveexec_b32 s1, vcc_lo
	s_cbranch_execz .LBB63_2
; %bb.4:                                ;   in Loop: Header=BB63_3 Depth=1
	ds_load_b32 v10, v0 offset:4
	s_waitcnt lgkmcnt(0)
	v_sub_nc_u32_e32 v10, v2, v10
	s_branch .LBB63_2
.LBB63_5:
	s_set_inst_prefetch_distance 0x2
	s_add_u32 s0, s6, s2
	s_addc_u32 s1, s7, s3
	v_add_co_u32 v0, s2, s0, v1
	s_delay_alu instid0(VALU_DEP_1) | instskip(NEXT) | instid1(VALU_DEP_2)
	v_add_co_ci_u32_e64 v11, null, s1, 0, s2
	v_add_co_u32 v10, vcc_lo, 0x1000, v0
	s_delay_alu instid0(VALU_DEP_2)
	v_add_co_ci_u32_e32 v11, vcc_lo, 0, v11, vcc_lo
	s_waitcnt vmcnt(7)
	global_store_b32 v1, v9, s[0:1]
	s_waitcnt vmcnt(6)
	global_store_b32 v1, v7, s[0:1] offset:1024
	s_waitcnt vmcnt(5)
	global_store_b32 v1, v8, s[0:1] offset:2048
	s_waitcnt vmcnt(4)
	global_store_b32 v1, v6, s[0:1] offset:3072
	s_waitcnt vmcnt(3)
	global_store_b32 v[10:11], v5, off
	s_waitcnt vmcnt(2)
	global_store_b32 v[10:11], v4, off offset:1024
	s_waitcnt vmcnt(1)
	global_store_b32 v[10:11], v3, off offset:2048
	;; [unrolled: 2-line block ×3, first 2 shown]
	s_nop 0
	s_sendmsg sendmsg(MSG_DEALLOC_VGPRS)
	s_endpgm
	.section	.rodata,"a",@progbits
	.p2align	6, 0x0
	.amdhsa_kernel _Z6kernelI14subtract_rightLj256ELj8ELb0EJPiS1_jEEvDpT3_
		.amdhsa_group_segment_fixed_size 2048
		.amdhsa_private_segment_fixed_size 0
		.amdhsa_kernarg_size 20
		.amdhsa_user_sgpr_count 15
		.amdhsa_user_sgpr_dispatch_ptr 0
		.amdhsa_user_sgpr_queue_ptr 0
		.amdhsa_user_sgpr_kernarg_segment_ptr 1
		.amdhsa_user_sgpr_dispatch_id 0
		.amdhsa_user_sgpr_private_segment_size 0
		.amdhsa_wavefront_size32 1
		.amdhsa_uses_dynamic_stack 0
		.amdhsa_enable_private_segment 0
		.amdhsa_system_sgpr_workgroup_id_x 1
		.amdhsa_system_sgpr_workgroup_id_y 0
		.amdhsa_system_sgpr_workgroup_id_z 0
		.amdhsa_system_sgpr_workgroup_info 0
		.amdhsa_system_vgpr_workitem_id 0
		.amdhsa_next_free_vgpr 16
		.amdhsa_next_free_sgpr 16
		.amdhsa_reserve_vcc 1
		.amdhsa_float_round_mode_32 0
		.amdhsa_float_round_mode_16_64 0
		.amdhsa_float_denorm_mode_32 3
		.amdhsa_float_denorm_mode_16_64 3
		.amdhsa_dx10_clamp 1
		.amdhsa_ieee_mode 1
		.amdhsa_fp16_overflow 0
		.amdhsa_workgroup_processor_mode 1
		.amdhsa_memory_ordered 1
		.amdhsa_forward_progress 0
		.amdhsa_shared_vgpr_count 0
		.amdhsa_exception_fp_ieee_invalid_op 0
		.amdhsa_exception_fp_denorm_src 0
		.amdhsa_exception_fp_ieee_div_zero 0
		.amdhsa_exception_fp_ieee_overflow 0
		.amdhsa_exception_fp_ieee_underflow 0
		.amdhsa_exception_fp_ieee_inexact 0
		.amdhsa_exception_int_div_zero 0
	.end_amdhsa_kernel
	.section	.text._Z6kernelI14subtract_rightLj256ELj8ELb0EJPiS1_jEEvDpT3_,"axG",@progbits,_Z6kernelI14subtract_rightLj256ELj8ELb0EJPiS1_jEEvDpT3_,comdat
.Lfunc_end63:
	.size	_Z6kernelI14subtract_rightLj256ELj8ELb0EJPiS1_jEEvDpT3_, .Lfunc_end63-_Z6kernelI14subtract_rightLj256ELj8ELb0EJPiS1_jEEvDpT3_
                                        ; -- End function
	.section	.AMDGPU.csdata,"",@progbits
; Kernel info:
; codeLenInByte = 492
; NumSgprs: 18
; NumVgprs: 16
; ScratchSize: 0
; MemoryBound: 0
; FloatMode: 240
; IeeeMode: 1
; LDSByteSize: 2048 bytes/workgroup (compile time only)
; SGPRBlocks: 2
; VGPRBlocks: 1
; NumSGPRsForWavesPerEU: 18
; NumVGPRsForWavesPerEU: 16
; Occupancy: 16
; WaveLimiterHint : 1
; COMPUTE_PGM_RSRC2:SCRATCH_EN: 0
; COMPUTE_PGM_RSRC2:USER_SGPR: 15
; COMPUTE_PGM_RSRC2:TRAP_HANDLER: 0
; COMPUTE_PGM_RSRC2:TGID_X_EN: 1
; COMPUTE_PGM_RSRC2:TGID_Y_EN: 0
; COMPUTE_PGM_RSRC2:TGID_Z_EN: 0
; COMPUTE_PGM_RSRC2:TIDIG_COMP_CNT: 0
	.section	.text._Z6kernelI14subtract_rightLj256ELj16ELb0EJPiS1_jEEvDpT3_,"axG",@progbits,_Z6kernelI14subtract_rightLj256ELj16ELb0EJPiS1_jEEvDpT3_,comdat
	.protected	_Z6kernelI14subtract_rightLj256ELj16ELb0EJPiS1_jEEvDpT3_ ; -- Begin function _Z6kernelI14subtract_rightLj256ELj16ELb0EJPiS1_jEEvDpT3_
	.globl	_Z6kernelI14subtract_rightLj256ELj16ELb0EJPiS1_jEEvDpT3_
	.p2align	8
	.type	_Z6kernelI14subtract_rightLj256ELj16ELb0EJPiS1_jEEvDpT3_,@function
_Z6kernelI14subtract_rightLj256ELj16ELb0EJPiS1_jEEvDpT3_: ; @_Z6kernelI14subtract_rightLj256ELj16ELb0EJPiS1_jEEvDpT3_
; %bb.0:
	s_load_b128 s[4:7], s[0:1], 0x0
	s_mov_b32 s3, 0
	s_lshl_b32 s2, s15, 12
	v_lshlrev_b32_e32 v1, 2, v0
	s_lshl_b64 s[2:3], s[2:3], 2
	s_load_b32 s0, s[0:1], 0x10
	s_waitcnt lgkmcnt(0)
	s_add_u32 s4, s4, s2
	s_addc_u32 s5, s5, s3
	v_add_co_u32 v6, s1, s4, v1
	s_delay_alu instid0(VALU_DEP_1) | instskip(SKIP_1) | instid1(VALU_DEP_2)
	v_add_co_ci_u32_e64 v7, null, s5, 0, s1
	s_cmp_eq_u32 s0, 0
	v_add_co_u32 v2, vcc_lo, 0x1000, v6
	s_delay_alu instid0(VALU_DEP_2)
	v_add_co_ci_u32_e32 v3, vcc_lo, 0, v7, vcc_lo
	v_add_co_u32 v18, vcc_lo, v6, 0x2000
	v_add_co_ci_u32_e32 v19, vcc_lo, 0, v7, vcc_lo
	v_add_co_u32 v4, vcc_lo, 0x2000, v6
	;; [unrolled: 2-line block ×3, first 2 shown]
	v_add_co_ci_u32_e32 v21, vcc_lo, 0, v7, vcc_lo
	s_clause 0xf
	global_load_b32 v17, v[18:19], off
	global_load_b32 v16, v1, s[4:5]
	global_load_b32 v15, v1, s[4:5] offset:1024
	global_load_b32 v14, v1, s[4:5] offset:2048
	;; [unrolled: 1-line block ×3, first 2 shown]
	global_load_b32 v11, v[2:3], off offset:1024
	global_load_b32 v10, v[2:3], off offset:2048
	;; [unrolled: 1-line block ×6, first 2 shown]
	global_load_b32 v5, v[20:21], off
	global_load_b32 v4, v[20:21], off offset:1024
	global_load_b32 v3, v[20:21], off offset:2048
	global_load_b32 v12, v[18:19], off offset:-4096
	global_load_b32 v2, v[20:21], off offset:3072
	s_cbranch_scc1 .LBB64_5
; %bb.1:
	v_cmp_ne_u32_e32 vcc_lo, 0xff, v0
	v_or_b32_e32 v0, 0x400, v1
	s_set_inst_prefetch_distance 0x1
	s_branch .LBB64_3
	.p2align	6
.LBB64_2:                               ;   in Loop: Header=BB64_3 Depth=1
	s_or_b32 exec_lo, exec_lo, s1
	v_sub_nc_u32_e32 v19, v16, v15
	v_sub_nc_u32_e32 v20, v15, v14
	;; [unrolled: 1-line block ×15, first 2 shown]
	v_add_nc_u32_e32 v16, v19, v16
	v_add_nc_u32_e32 v15, v20, v15
	;; [unrolled: 1-line block ×16, first 2 shown]
	s_add_i32 s0, s0, -1
	s_delay_alu instid0(SALU_CYCLE_1)
	s_cmp_lg_u32 s0, 0
	s_barrier
	buffer_gl0_inv
	s_cbranch_scc0 .LBB64_5
.LBB64_3:                               ; =>This Inner Loop Header: Depth=1
	s_waitcnt vmcnt(0)
	v_mov_b32_e32 v18, v2
	ds_store_b32 v1, v16 offset:1024
	s_waitcnt lgkmcnt(0)
	s_barrier
	buffer_gl0_inv
	s_and_saveexec_b32 s1, vcc_lo
	s_cbranch_execz .LBB64_2
; %bb.4:                                ;   in Loop: Header=BB64_3 Depth=1
	ds_load_b32 v18, v0 offset:4
	s_waitcnt lgkmcnt(0)
	v_sub_nc_u32_e32 v18, v2, v18
	s_branch .LBB64_2
.LBB64_5:
	s_set_inst_prefetch_distance 0x2
	s_add_u32 s0, s6, s2
	s_addc_u32 s1, s7, s3
	v_add_co_u32 v0, s2, s0, v1
	s_delay_alu instid0(VALU_DEP_1) | instskip(NEXT) | instid1(VALU_DEP_2)
	v_add_co_ci_u32_e64 v25, null, s1, 0, s2
	v_add_co_u32 v18, vcc_lo, 0x1000, v0
	s_delay_alu instid0(VALU_DEP_2)
	v_add_co_ci_u32_e32 v19, vcc_lo, 0, v25, vcc_lo
	v_add_co_u32 v20, vcc_lo, v0, 0x2000
	v_add_co_ci_u32_e32 v21, vcc_lo, 0, v25, vcc_lo
	v_add_co_u32 v22, vcc_lo, 0x2000, v0
	v_add_co_ci_u32_e32 v23, vcc_lo, 0, v25, vcc_lo
	v_add_co_u32 v24, vcc_lo, 0x3000, v0
	s_waitcnt vmcnt(15)
	global_store_b32 v[20:21], v17, off
	v_add_co_ci_u32_e32 v25, vcc_lo, 0, v25, vcc_lo
	s_waitcnt vmcnt(14)
	global_store_b32 v1, v16, s[0:1]
	s_waitcnt vmcnt(13)
	global_store_b32 v1, v15, s[0:1] offset:1024
	s_waitcnt vmcnt(12)
	global_store_b32 v1, v14, s[0:1] offset:2048
	;; [unrolled: 2-line block ×3, first 2 shown]
	s_waitcnt vmcnt(10)
	global_store_b32 v[18:19], v11, off offset:1024
	s_waitcnt vmcnt(9)
	global_store_b32 v[18:19], v10, off offset:2048
	s_waitcnt vmcnt(8)
	global_store_b32 v[18:19], v9, off offset:3072
	s_waitcnt vmcnt(7)
	global_store_b32 v[22:23], v8, off offset:1024
	s_waitcnt vmcnt(6)
	global_store_b32 v[22:23], v7, off offset:2048
	s_waitcnt vmcnt(5)
	global_store_b32 v[22:23], v6, off offset:3072
	s_waitcnt vmcnt(4)
	global_store_b32 v[24:25], v5, off
	s_waitcnt vmcnt(3)
	global_store_b32 v[24:25], v4, off offset:1024
	s_waitcnt vmcnt(2)
	global_store_b32 v[24:25], v3, off offset:2048
	s_waitcnt vmcnt(1)
	global_store_b32 v[20:21], v12, off offset:-4096
	s_waitcnt vmcnt(0)
	global_store_b32 v[24:25], v2, off offset:3072
	s_nop 0
	s_sendmsg sendmsg(MSG_DEALLOC_VGPRS)
	s_endpgm
	.section	.rodata,"a",@progbits
	.p2align	6, 0x0
	.amdhsa_kernel _Z6kernelI14subtract_rightLj256ELj16ELb0EJPiS1_jEEvDpT3_
		.amdhsa_group_segment_fixed_size 2048
		.amdhsa_private_segment_fixed_size 0
		.amdhsa_kernarg_size 20
		.amdhsa_user_sgpr_count 15
		.amdhsa_user_sgpr_dispatch_ptr 0
		.amdhsa_user_sgpr_queue_ptr 0
		.amdhsa_user_sgpr_kernarg_segment_ptr 1
		.amdhsa_user_sgpr_dispatch_id 0
		.amdhsa_user_sgpr_private_segment_size 0
		.amdhsa_wavefront_size32 1
		.amdhsa_uses_dynamic_stack 0
		.amdhsa_enable_private_segment 0
		.amdhsa_system_sgpr_workgroup_id_x 1
		.amdhsa_system_sgpr_workgroup_id_y 0
		.amdhsa_system_sgpr_workgroup_id_z 0
		.amdhsa_system_sgpr_workgroup_info 0
		.amdhsa_system_vgpr_workitem_id 0
		.amdhsa_next_free_vgpr 34
		.amdhsa_next_free_sgpr 16
		.amdhsa_reserve_vcc 1
		.amdhsa_float_round_mode_32 0
		.amdhsa_float_round_mode_16_64 0
		.amdhsa_float_denorm_mode_32 3
		.amdhsa_float_denorm_mode_16_64 3
		.amdhsa_dx10_clamp 1
		.amdhsa_ieee_mode 1
		.amdhsa_fp16_overflow 0
		.amdhsa_workgroup_processor_mode 1
		.amdhsa_memory_ordered 1
		.amdhsa_forward_progress 0
		.amdhsa_shared_vgpr_count 0
		.amdhsa_exception_fp_ieee_invalid_op 0
		.amdhsa_exception_fp_denorm_src 0
		.amdhsa_exception_fp_ieee_div_zero 0
		.amdhsa_exception_fp_ieee_overflow 0
		.amdhsa_exception_fp_ieee_underflow 0
		.amdhsa_exception_fp_ieee_inexact 0
		.amdhsa_exception_int_div_zero 0
	.end_amdhsa_kernel
	.section	.text._Z6kernelI14subtract_rightLj256ELj16ELb0EJPiS1_jEEvDpT3_,"axG",@progbits,_Z6kernelI14subtract_rightLj256ELj16ELb0EJPiS1_jEEvDpT3_,comdat
.Lfunc_end64:
	.size	_Z6kernelI14subtract_rightLj256ELj16ELb0EJPiS1_jEEvDpT3_, .Lfunc_end64-_Z6kernelI14subtract_rightLj256ELj16ELb0EJPiS1_jEEvDpT3_
                                        ; -- End function
	.section	.AMDGPU.csdata,"",@progbits
; Kernel info:
; codeLenInByte = 816
; NumSgprs: 18
; NumVgprs: 34
; ScratchSize: 0
; MemoryBound: 0
; FloatMode: 240
; IeeeMode: 1
; LDSByteSize: 2048 bytes/workgroup (compile time only)
; SGPRBlocks: 2
; VGPRBlocks: 4
; NumSGPRsForWavesPerEU: 18
; NumVGPRsForWavesPerEU: 34
; Occupancy: 16
; WaveLimiterHint : 1
; COMPUTE_PGM_RSRC2:SCRATCH_EN: 0
; COMPUTE_PGM_RSRC2:USER_SGPR: 15
; COMPUTE_PGM_RSRC2:TRAP_HANDLER: 0
; COMPUTE_PGM_RSRC2:TGID_X_EN: 1
; COMPUTE_PGM_RSRC2:TGID_Y_EN: 0
; COMPUTE_PGM_RSRC2:TGID_Z_EN: 0
; COMPUTE_PGM_RSRC2:TIDIG_COMP_CNT: 0
	.section	.text._Z6kernelI14subtract_rightLj256ELj32ELb0EJPiS1_jEEvDpT3_,"axG",@progbits,_Z6kernelI14subtract_rightLj256ELj32ELb0EJPiS1_jEEvDpT3_,comdat
	.protected	_Z6kernelI14subtract_rightLj256ELj32ELb0EJPiS1_jEEvDpT3_ ; -- Begin function _Z6kernelI14subtract_rightLj256ELj32ELb0EJPiS1_jEEvDpT3_
	.globl	_Z6kernelI14subtract_rightLj256ELj32ELb0EJPiS1_jEEvDpT3_
	.p2align	8
	.type	_Z6kernelI14subtract_rightLj256ELj32ELb0EJPiS1_jEEvDpT3_,@function
_Z6kernelI14subtract_rightLj256ELj32ELb0EJPiS1_jEEvDpT3_: ; @_Z6kernelI14subtract_rightLj256ELj32ELb0EJPiS1_jEEvDpT3_
; %bb.0:
	s_load_b128 s[4:7], s[0:1], 0x0
	s_mov_b32 s3, 0
	s_lshl_b32 s2, s15, 13
	v_lshlrev_b32_e32 v1, 2, v0
	s_lshl_b64 s[2:3], s[2:3], 2
	s_load_b32 s0, s[0:1], 0x10
	s_waitcnt lgkmcnt(0)
	s_add_u32 s4, s4, s2
	s_addc_u32 s5, s5, s3
	v_add_co_u32 v10, s1, s4, v1
	s_delay_alu instid0(VALU_DEP_1) | instskip(SKIP_1) | instid1(VALU_DEP_2)
	v_add_co_ci_u32_e64 v11, null, s5, 0, s1
	s_cmp_eq_u32 s0, 0
	v_add_co_u32 v2, vcc_lo, 0x1000, v10
	s_delay_alu instid0(VALU_DEP_2)
	v_add_co_ci_u32_e32 v3, vcc_lo, 0, v11, vcc_lo
	v_add_co_u32 v34, vcc_lo, v10, 0x2000
	v_add_co_ci_u32_e32 v35, vcc_lo, 0, v11, vcc_lo
	v_add_co_u32 v4, vcc_lo, 0x2000, v10
	v_add_co_ci_u32_e32 v5, vcc_lo, 0, v11, vcc_lo
	s_clause 0x7
	global_load_b32 v33, v1, s[4:5]
	global_load_b32 v32, v1, s[4:5] offset:1024
	global_load_b32 v31, v1, s[4:5] offset:2048
	;; [unrolled: 1-line block ×3, first 2 shown]
	global_load_b32 v28, v[2:3], off offset:1024
	global_load_b32 v27, v[2:3], off offset:2048
	global_load_b32 v26, v[2:3], off offset:3072
	global_load_b32 v24, v[4:5], off offset:1024
	v_add_co_u32 v2, vcc_lo, 0x3000, v10
	v_add_co_ci_u32_e32 v3, vcc_lo, 0, v11, vcc_lo
	v_add_co_u32 v6, vcc_lo, v10, 0x4000
	v_add_co_ci_u32_e32 v7, vcc_lo, 0, v11, vcc_lo
	;; [unrolled: 2-line block ×3, first 2 shown]
	s_clause 0x7
	global_load_b32 v23, v[4:5], off offset:2048
	global_load_b32 v22, v[4:5], off offset:3072
	;; [unrolled: 1-line block ×8, first 2 shown]
	v_add_co_u32 v2, vcc_lo, 0x5000, v10
	v_add_co_ci_u32_e32 v3, vcc_lo, 0, v11, vcc_lo
	v_add_co_u32 v4, vcc_lo, v10, 0x6000
	v_add_co_ci_u32_e32 v5, vcc_lo, 0, v11, vcc_lo
	;; [unrolled: 2-line block ×3, first 2 shown]
	v_add_co_u32 v38, vcc_lo, 0x7000, v10
	s_clause 0x4
	global_load_b32 v25, v[34:35], off
	global_load_b32 v21, v[6:7], off offset:-4096
	global_load_b32 v17, v[6:7], off
	global_load_b32 v13, v[4:5], off offset:-4096
	global_load_b32 v9, v[4:5], off
	v_add_co_ci_u32_e32 v39, vcc_lo, 0, v11, vcc_lo
	s_clause 0xa
	global_load_b32 v12, v[2:3], off offset:1024
	global_load_b32 v11, v[2:3], off offset:2048
	global_load_b32 v10, v[2:3], off offset:3072
	global_load_b32 v8, v[36:37], off offset:1024
	global_load_b32 v7, v[36:37], off offset:2048
	global_load_b32 v6, v[36:37], off offset:3072
	global_load_b32 v5, v[38:39], off
	global_load_b32 v4, v[38:39], off offset:1024
	global_load_b32 v3, v[38:39], off offset:2048
	global_load_b32 v29, v[34:35], off offset:-4096
	global_load_b32 v2, v[38:39], off offset:3072
	s_cbranch_scc1 .LBB65_5
; %bb.1:
	v_cmp_ne_u32_e32 vcc_lo, 0xff, v0
	v_or_b32_e32 v0, 0x400, v1
	s_branch .LBB65_3
.LBB65_2:                               ;   in Loop: Header=BB65_3 Depth=1
	s_or_b32 exec_lo, exec_lo, s1
	v_sub_nc_u32_e32 v35, v33, v32
	v_sub_nc_u32_e32 v36, v32, v31
	;; [unrolled: 1-line block ×31, first 2 shown]
	v_add_nc_u32_e32 v33, v35, v33
	v_add_nc_u32_e32 v32, v36, v32
	;; [unrolled: 1-line block ×32, first 2 shown]
	s_add_i32 s0, s0, -1
	s_delay_alu instid0(SALU_CYCLE_1)
	s_cmp_lg_u32 s0, 0
	s_barrier
	buffer_gl0_inv
	s_cbranch_scc0 .LBB65_5
.LBB65_3:                               ; =>This Inner Loop Header: Depth=1
	s_waitcnt vmcnt(0)
	v_mov_b32_e32 v34, v2
	ds_store_b32 v1, v33 offset:1024
	s_waitcnt lgkmcnt(0)
	s_barrier
	buffer_gl0_inv
	s_and_saveexec_b32 s1, vcc_lo
	s_cbranch_execz .LBB65_2
; %bb.4:                                ;   in Loop: Header=BB65_3 Depth=1
	ds_load_b32 v34, v0 offset:4
	s_waitcnt lgkmcnt(0)
	v_sub_nc_u32_e32 v34, v2, v34
	s_branch .LBB65_2
.LBB65_5:
	s_add_u32 s0, s6, s2
	s_addc_u32 s1, s7, s3
	v_add_co_u32 v40, s2, s0, v1
	s_delay_alu instid0(VALU_DEP_1) | instskip(NEXT) | instid1(VALU_DEP_2)
	v_add_co_ci_u32_e64 v41, null, s1, 0, s2
	v_add_co_u32 v34, vcc_lo, 0x1000, v40
	s_delay_alu instid0(VALU_DEP_2)
	v_add_co_ci_u32_e32 v35, vcc_lo, 0, v41, vcc_lo
	v_add_co_u32 v36, vcc_lo, v40, 0x2000
	v_add_co_ci_u32_e32 v37, vcc_lo, 0, v41, vcc_lo
	v_add_co_u32 v38, vcc_lo, 0x2000, v40
	;; [unrolled: 2-line block ×3, first 2 shown]
	s_waitcnt vmcnt(31)
	global_store_b32 v1, v33, s[0:1]
	s_waitcnt vmcnt(30)
	global_store_b32 v1, v32, s[0:1] offset:1024
	s_waitcnt vmcnt(29)
	global_store_b32 v1, v31, s[0:1] offset:2048
	;; [unrolled: 2-line block ×3, first 2 shown]
	s_waitcnt vmcnt(27)
	global_store_b32 v[34:35], v28, off offset:1024
	s_waitcnt vmcnt(26)
	global_store_b32 v[34:35], v27, off offset:2048
	;; [unrolled: 2-line block ×4, first 2 shown]
	v_add_co_ci_u32_e32 v1, vcc_lo, 0, v41, vcc_lo
	v_add_co_u32 v26, vcc_lo, v40, 0x4000
	v_add_co_ci_u32_e32 v27, vcc_lo, 0, v41, vcc_lo
	v_add_co_u32 v30, vcc_lo, 0x4000, v40
	v_add_co_ci_u32_e32 v31, vcc_lo, 0, v41, vcc_lo
	s_waitcnt vmcnt(23)
	global_store_b32 v[38:39], v23, off offset:2048
	s_waitcnt vmcnt(22)
	global_store_b32 v[38:39], v22, off offset:3072
	;; [unrolled: 2-line block ×8, first 2 shown]
	v_add_co_u32 v0, vcc_lo, 0x5000, v40
	v_add_co_ci_u32_e32 v1, vcc_lo, 0, v41, vcc_lo
	v_add_co_u32 v14, vcc_lo, v40, 0x6000
	v_add_co_ci_u32_e32 v15, vcc_lo, 0, v41, vcc_lo
	;; [unrolled: 2-line block ×3, first 2 shown]
	s_waitcnt vmcnt(15)
	global_store_b32 v[36:37], v25, off
	s_waitcnt vmcnt(14)
	global_store_b32 v[26:27], v21, off offset:-4096
	s_waitcnt vmcnt(13)
	global_store_b32 v[26:27], v17, off
	s_waitcnt vmcnt(12)
	global_store_b32 v[14:15], v13, off offset:-4096
	s_waitcnt vmcnt(11)
	global_store_b32 v[14:15], v9, off
	v_add_co_u32 v13, vcc_lo, 0x7000, v40
	v_add_co_ci_u32_e32 v14, vcc_lo, 0, v41, vcc_lo
	s_waitcnt vmcnt(10)
	global_store_b32 v[0:1], v12, off offset:1024
	s_waitcnt vmcnt(9)
	global_store_b32 v[0:1], v11, off offset:2048
	;; [unrolled: 2-line block ×6, first 2 shown]
	s_waitcnt vmcnt(4)
	global_store_b32 v[13:14], v5, off
	s_waitcnt vmcnt(3)
	global_store_b32 v[13:14], v4, off offset:1024
	s_waitcnt vmcnt(2)
	global_store_b32 v[13:14], v3, off offset:2048
	s_waitcnt vmcnt(1)
	global_store_b32 v[36:37], v29, off offset:-4096
	s_waitcnt vmcnt(0)
	global_store_b32 v[13:14], v2, off offset:3072
	s_nop 0
	s_sendmsg sendmsg(MSG_DEALLOC_VGPRS)
	s_endpgm
	.section	.rodata,"a",@progbits
	.p2align	6, 0x0
	.amdhsa_kernel _Z6kernelI14subtract_rightLj256ELj32ELb0EJPiS1_jEEvDpT3_
		.amdhsa_group_segment_fixed_size 2048
		.amdhsa_private_segment_fixed_size 0
		.amdhsa_kernarg_size 20
		.amdhsa_user_sgpr_count 15
		.amdhsa_user_sgpr_dispatch_ptr 0
		.amdhsa_user_sgpr_queue_ptr 0
		.amdhsa_user_sgpr_kernarg_segment_ptr 1
		.amdhsa_user_sgpr_dispatch_id 0
		.amdhsa_user_sgpr_private_segment_size 0
		.amdhsa_wavefront_size32 1
		.amdhsa_uses_dynamic_stack 0
		.amdhsa_enable_private_segment 0
		.amdhsa_system_sgpr_workgroup_id_x 1
		.amdhsa_system_sgpr_workgroup_id_y 0
		.amdhsa_system_sgpr_workgroup_id_z 0
		.amdhsa_system_sgpr_workgroup_info 0
		.amdhsa_system_vgpr_workitem_id 0
		.amdhsa_next_free_vgpr 66
		.amdhsa_next_free_sgpr 16
		.amdhsa_reserve_vcc 1
		.amdhsa_float_round_mode_32 0
		.amdhsa_float_round_mode_16_64 0
		.amdhsa_float_denorm_mode_32 3
		.amdhsa_float_denorm_mode_16_64 3
		.amdhsa_dx10_clamp 1
		.amdhsa_ieee_mode 1
		.amdhsa_fp16_overflow 0
		.amdhsa_workgroup_processor_mode 1
		.amdhsa_memory_ordered 1
		.amdhsa_forward_progress 0
		.amdhsa_shared_vgpr_count 0
		.amdhsa_exception_fp_ieee_invalid_op 0
		.amdhsa_exception_fp_denorm_src 0
		.amdhsa_exception_fp_ieee_div_zero 0
		.amdhsa_exception_fp_ieee_overflow 0
		.amdhsa_exception_fp_ieee_underflow 0
		.amdhsa_exception_fp_ieee_inexact 0
		.amdhsa_exception_int_div_zero 0
	.end_amdhsa_kernel
	.section	.text._Z6kernelI14subtract_rightLj256ELj32ELb0EJPiS1_jEEvDpT3_,"axG",@progbits,_Z6kernelI14subtract_rightLj256ELj32ELb0EJPiS1_jEEvDpT3_,comdat
.Lfunc_end65:
	.size	_Z6kernelI14subtract_rightLj256ELj32ELb0EJPiS1_jEEvDpT3_, .Lfunc_end65-_Z6kernelI14subtract_rightLj256ELj32ELb0EJPiS1_jEEvDpT3_
                                        ; -- End function
	.section	.AMDGPU.csdata,"",@progbits
; Kernel info:
; codeLenInByte = 1460
; NumSgprs: 18
; NumVgprs: 66
; ScratchSize: 0
; MemoryBound: 0
; FloatMode: 240
; IeeeMode: 1
; LDSByteSize: 2048 bytes/workgroup (compile time only)
; SGPRBlocks: 2
; VGPRBlocks: 8
; NumSGPRsForWavesPerEU: 18
; NumVGPRsForWavesPerEU: 66
; Occupancy: 16
; WaveLimiterHint : 1
; COMPUTE_PGM_RSRC2:SCRATCH_EN: 0
; COMPUTE_PGM_RSRC2:USER_SGPR: 15
; COMPUTE_PGM_RSRC2:TRAP_HANDLER: 0
; COMPUTE_PGM_RSRC2:TGID_X_EN: 1
; COMPUTE_PGM_RSRC2:TGID_Y_EN: 0
; COMPUTE_PGM_RSRC2:TGID_Z_EN: 0
; COMPUTE_PGM_RSRC2:TIDIG_COMP_CNT: 0
	.section	.text._Z6kernelI14subtract_rightLj256ELj1ELb0EJPfS1_jEEvDpT3_,"axG",@progbits,_Z6kernelI14subtract_rightLj256ELj1ELb0EJPfS1_jEEvDpT3_,comdat
	.protected	_Z6kernelI14subtract_rightLj256ELj1ELb0EJPfS1_jEEvDpT3_ ; -- Begin function _Z6kernelI14subtract_rightLj256ELj1ELb0EJPfS1_jEEvDpT3_
	.globl	_Z6kernelI14subtract_rightLj256ELj1ELb0EJPfS1_jEEvDpT3_
	.p2align	8
	.type	_Z6kernelI14subtract_rightLj256ELj1ELb0EJPfS1_jEEvDpT3_,@function
_Z6kernelI14subtract_rightLj256ELj1ELb0EJPfS1_jEEvDpT3_: ; @_Z6kernelI14subtract_rightLj256ELj1ELb0EJPfS1_jEEvDpT3_
; %bb.0:
	s_load_b128 s[4:7], s[0:1], 0x0
	s_lshl_b32 s2, s15, 8
	s_mov_b32 s3, 0
	v_lshlrev_b32_e32 v1, 2, v0
	s_lshl_b64 s[2:3], s[2:3], 2
	s_load_b32 s0, s[0:1], 0x10
	s_waitcnt lgkmcnt(0)
	s_add_u32 s4, s4, s2
	s_addc_u32 s5, s5, s3
	global_load_b32 v2, v1, s[4:5]
	s_cmp_eq_u32 s0, 0
	s_cbranch_scc1 .LBB66_5
; %bb.1:
	v_cmp_ne_u32_e32 vcc_lo, 0xff, v0
	v_or_b32_e32 v0, 0x400, v1
	s_branch .LBB66_3
.LBB66_2:                               ;   in Loop: Header=BB66_3 Depth=1
	s_or_b32 exec_lo, exec_lo, s1
	s_delay_alu instid0(VALU_DEP_1) | instskip(SKIP_1) | instid1(SALU_CYCLE_1)
	v_add_f32_e32 v2, v2, v3
	s_add_i32 s0, s0, -1
	s_cmp_lg_u32 s0, 0
	s_barrier
	buffer_gl0_inv
	s_cbranch_scc0 .LBB66_5
.LBB66_3:                               ; =>This Inner Loop Header: Depth=1
	s_waitcnt vmcnt(0)
	v_mov_b32_e32 v3, v2
	ds_store_b32 v1, v2 offset:1024
	s_waitcnt lgkmcnt(0)
	s_barrier
	buffer_gl0_inv
	s_and_saveexec_b32 s1, vcc_lo
	s_cbranch_execz .LBB66_2
; %bb.4:                                ;   in Loop: Header=BB66_3 Depth=1
	ds_load_b32 v3, v0 offset:4
	s_waitcnt lgkmcnt(0)
	v_sub_f32_e32 v3, v2, v3
	s_branch .LBB66_2
.LBB66_5:
	s_add_u32 s0, s6, s2
	s_addc_u32 s1, s7, s3
	s_waitcnt vmcnt(0)
	global_store_b32 v1, v2, s[0:1]
	s_nop 0
	s_sendmsg sendmsg(MSG_DEALLOC_VGPRS)
	s_endpgm
	.section	.rodata,"a",@progbits
	.p2align	6, 0x0
	.amdhsa_kernel _Z6kernelI14subtract_rightLj256ELj1ELb0EJPfS1_jEEvDpT3_
		.amdhsa_group_segment_fixed_size 2048
		.amdhsa_private_segment_fixed_size 0
		.amdhsa_kernarg_size 20
		.amdhsa_user_sgpr_count 15
		.amdhsa_user_sgpr_dispatch_ptr 0
		.amdhsa_user_sgpr_queue_ptr 0
		.amdhsa_user_sgpr_kernarg_segment_ptr 1
		.amdhsa_user_sgpr_dispatch_id 0
		.amdhsa_user_sgpr_private_segment_size 0
		.amdhsa_wavefront_size32 1
		.amdhsa_uses_dynamic_stack 0
		.amdhsa_enable_private_segment 0
		.amdhsa_system_sgpr_workgroup_id_x 1
		.amdhsa_system_sgpr_workgroup_id_y 0
		.amdhsa_system_sgpr_workgroup_id_z 0
		.amdhsa_system_sgpr_workgroup_info 0
		.amdhsa_system_vgpr_workitem_id 0
		.amdhsa_next_free_vgpr 4
		.amdhsa_next_free_sgpr 16
		.amdhsa_reserve_vcc 1
		.amdhsa_float_round_mode_32 0
		.amdhsa_float_round_mode_16_64 0
		.amdhsa_float_denorm_mode_32 3
		.amdhsa_float_denorm_mode_16_64 3
		.amdhsa_dx10_clamp 1
		.amdhsa_ieee_mode 1
		.amdhsa_fp16_overflow 0
		.amdhsa_workgroup_processor_mode 1
		.amdhsa_memory_ordered 1
		.amdhsa_forward_progress 0
		.amdhsa_shared_vgpr_count 0
		.amdhsa_exception_fp_ieee_invalid_op 0
		.amdhsa_exception_fp_denorm_src 0
		.amdhsa_exception_fp_ieee_div_zero 0
		.amdhsa_exception_fp_ieee_overflow 0
		.amdhsa_exception_fp_ieee_underflow 0
		.amdhsa_exception_fp_ieee_inexact 0
		.amdhsa_exception_int_div_zero 0
	.end_amdhsa_kernel
	.section	.text._Z6kernelI14subtract_rightLj256ELj1ELb0EJPfS1_jEEvDpT3_,"axG",@progbits,_Z6kernelI14subtract_rightLj256ELj1ELb0EJPfS1_jEEvDpT3_,comdat
.Lfunc_end66:
	.size	_Z6kernelI14subtract_rightLj256ELj1ELb0EJPfS1_jEEvDpT3_, .Lfunc_end66-_Z6kernelI14subtract_rightLj256ELj1ELb0EJPfS1_jEEvDpT3_
                                        ; -- End function
	.section	.AMDGPU.csdata,"",@progbits
; Kernel info:
; codeLenInByte = 208
; NumSgprs: 18
; NumVgprs: 4
; ScratchSize: 0
; MemoryBound: 0
; FloatMode: 240
; IeeeMode: 1
; LDSByteSize: 2048 bytes/workgroup (compile time only)
; SGPRBlocks: 2
; VGPRBlocks: 0
; NumSGPRsForWavesPerEU: 18
; NumVGPRsForWavesPerEU: 4
; Occupancy: 16
; WaveLimiterHint : 0
; COMPUTE_PGM_RSRC2:SCRATCH_EN: 0
; COMPUTE_PGM_RSRC2:USER_SGPR: 15
; COMPUTE_PGM_RSRC2:TRAP_HANDLER: 0
; COMPUTE_PGM_RSRC2:TGID_X_EN: 1
; COMPUTE_PGM_RSRC2:TGID_Y_EN: 0
; COMPUTE_PGM_RSRC2:TGID_Z_EN: 0
; COMPUTE_PGM_RSRC2:TIDIG_COMP_CNT: 0
	.section	.text._Z6kernelI14subtract_rightLj256ELj3ELb0EJPfS1_jEEvDpT3_,"axG",@progbits,_Z6kernelI14subtract_rightLj256ELj3ELb0EJPfS1_jEEvDpT3_,comdat
	.protected	_Z6kernelI14subtract_rightLj256ELj3ELb0EJPfS1_jEEvDpT3_ ; -- Begin function _Z6kernelI14subtract_rightLj256ELj3ELb0EJPfS1_jEEvDpT3_
	.globl	_Z6kernelI14subtract_rightLj256ELj3ELb0EJPfS1_jEEvDpT3_
	.p2align	8
	.type	_Z6kernelI14subtract_rightLj256ELj3ELb0EJPfS1_jEEvDpT3_,@function
_Z6kernelI14subtract_rightLj256ELj3ELb0EJPfS1_jEEvDpT3_: ; @_Z6kernelI14subtract_rightLj256ELj3ELb0EJPfS1_jEEvDpT3_
; %bb.0:
	s_load_b128 s[4:7], s[0:1], 0x0
	s_mov_b32 s3, 0
	s_mul_i32 s2, s15, 0x300
	v_lshlrev_b32_e32 v1, 2, v0
	s_lshl_b64 s[2:3], s[2:3], 2
	s_load_b32 s0, s[0:1], 0x10
	s_waitcnt lgkmcnt(0)
	s_add_u32 s4, s4, s2
	s_addc_u32 s5, s5, s3
	s_clause 0x2
	global_load_b32 v4, v1, s[4:5]
	global_load_b32 v3, v1, s[4:5] offset:1024
	global_load_b32 v2, v1, s[4:5] offset:2048
	s_cmp_eq_u32 s0, 0
	s_cbranch_scc1 .LBB67_5
; %bb.1:
	v_cmp_ne_u32_e32 vcc_lo, 0xff, v0
	v_or_b32_e32 v0, 0x400, v1
	s_branch .LBB67_3
	.p2align	6
.LBB67_2:                               ;   in Loop: Header=BB67_3 Depth=1
	s_or_b32 exec_lo, exec_lo, s1
	v_dual_sub_f32 v6, v4, v3 :: v_dual_sub_f32 v7, v3, v2
	s_delay_alu instid0(VALU_DEP_2) | instskip(SKIP_1) | instid1(VALU_DEP_2)
	v_add_f32_e32 v2, v2, v5
	s_add_i32 s0, s0, -1
	v_dual_add_f32 v4, v4, v6 :: v_dual_add_f32 v3, v3, v7
	s_cmp_lg_u32 s0, 0
	s_barrier
	buffer_gl0_inv
	s_cbranch_scc0 .LBB67_5
.LBB67_3:                               ; =>This Inner Loop Header: Depth=1
	s_waitcnt vmcnt(0)
	v_mov_b32_e32 v5, v2
	ds_store_b32 v1, v4 offset:1024
	s_waitcnt lgkmcnt(0)
	s_barrier
	buffer_gl0_inv
	s_and_saveexec_b32 s1, vcc_lo
	s_cbranch_execz .LBB67_2
; %bb.4:                                ;   in Loop: Header=BB67_3 Depth=1
	ds_load_b32 v5, v0 offset:4
	s_waitcnt lgkmcnt(0)
	v_sub_f32_e32 v5, v2, v5
	s_branch .LBB67_2
.LBB67_5:
	s_add_u32 s0, s6, s2
	s_addc_u32 s1, s7, s3
	s_waitcnt vmcnt(2)
	global_store_b32 v1, v4, s[0:1]
	s_waitcnt vmcnt(1)
	global_store_b32 v1, v3, s[0:1] offset:1024
	s_waitcnt vmcnt(0)
	global_store_b32 v1, v2, s[0:1] offset:2048
	s_nop 0
	s_sendmsg sendmsg(MSG_DEALLOC_VGPRS)
	s_endpgm
	.section	.rodata,"a",@progbits
	.p2align	6, 0x0
	.amdhsa_kernel _Z6kernelI14subtract_rightLj256ELj3ELb0EJPfS1_jEEvDpT3_
		.amdhsa_group_segment_fixed_size 2048
		.amdhsa_private_segment_fixed_size 0
		.amdhsa_kernarg_size 20
		.amdhsa_user_sgpr_count 15
		.amdhsa_user_sgpr_dispatch_ptr 0
		.amdhsa_user_sgpr_queue_ptr 0
		.amdhsa_user_sgpr_kernarg_segment_ptr 1
		.amdhsa_user_sgpr_dispatch_id 0
		.amdhsa_user_sgpr_private_segment_size 0
		.amdhsa_wavefront_size32 1
		.amdhsa_uses_dynamic_stack 0
		.amdhsa_enable_private_segment 0
		.amdhsa_system_sgpr_workgroup_id_x 1
		.amdhsa_system_sgpr_workgroup_id_y 0
		.amdhsa_system_sgpr_workgroup_id_z 0
		.amdhsa_system_sgpr_workgroup_info 0
		.amdhsa_system_vgpr_workitem_id 0
		.amdhsa_next_free_vgpr 8
		.amdhsa_next_free_sgpr 16
		.amdhsa_reserve_vcc 1
		.amdhsa_float_round_mode_32 0
		.amdhsa_float_round_mode_16_64 0
		.amdhsa_float_denorm_mode_32 3
		.amdhsa_float_denorm_mode_16_64 3
		.amdhsa_dx10_clamp 1
		.amdhsa_ieee_mode 1
		.amdhsa_fp16_overflow 0
		.amdhsa_workgroup_processor_mode 1
		.amdhsa_memory_ordered 1
		.amdhsa_forward_progress 0
		.amdhsa_shared_vgpr_count 0
		.amdhsa_exception_fp_ieee_invalid_op 0
		.amdhsa_exception_fp_denorm_src 0
		.amdhsa_exception_fp_ieee_div_zero 0
		.amdhsa_exception_fp_ieee_overflow 0
		.amdhsa_exception_fp_ieee_underflow 0
		.amdhsa_exception_fp_ieee_inexact 0
		.amdhsa_exception_int_div_zero 0
	.end_amdhsa_kernel
	.section	.text._Z6kernelI14subtract_rightLj256ELj3ELb0EJPfS1_jEEvDpT3_,"axG",@progbits,_Z6kernelI14subtract_rightLj256ELj3ELb0EJPfS1_jEEvDpT3_,comdat
.Lfunc_end67:
	.size	_Z6kernelI14subtract_rightLj256ELj3ELb0EJPfS1_jEEvDpT3_, .Lfunc_end67-_Z6kernelI14subtract_rightLj256ELj3ELb0EJPfS1_jEEvDpT3_
                                        ; -- End function
	.section	.AMDGPU.csdata,"",@progbits
; Kernel info:
; codeLenInByte = 272
; NumSgprs: 18
; NumVgprs: 8
; ScratchSize: 0
; MemoryBound: 0
; FloatMode: 240
; IeeeMode: 1
; LDSByteSize: 2048 bytes/workgroup (compile time only)
; SGPRBlocks: 2
; VGPRBlocks: 0
; NumSGPRsForWavesPerEU: 18
; NumVGPRsForWavesPerEU: 8
; Occupancy: 16
; WaveLimiterHint : 1
; COMPUTE_PGM_RSRC2:SCRATCH_EN: 0
; COMPUTE_PGM_RSRC2:USER_SGPR: 15
; COMPUTE_PGM_RSRC2:TRAP_HANDLER: 0
; COMPUTE_PGM_RSRC2:TGID_X_EN: 1
; COMPUTE_PGM_RSRC2:TGID_Y_EN: 0
; COMPUTE_PGM_RSRC2:TGID_Z_EN: 0
; COMPUTE_PGM_RSRC2:TIDIG_COMP_CNT: 0
	.section	.text._Z6kernelI14subtract_rightLj256ELj4ELb0EJPfS1_jEEvDpT3_,"axG",@progbits,_Z6kernelI14subtract_rightLj256ELj4ELb0EJPfS1_jEEvDpT3_,comdat
	.protected	_Z6kernelI14subtract_rightLj256ELj4ELb0EJPfS1_jEEvDpT3_ ; -- Begin function _Z6kernelI14subtract_rightLj256ELj4ELb0EJPfS1_jEEvDpT3_
	.globl	_Z6kernelI14subtract_rightLj256ELj4ELb0EJPfS1_jEEvDpT3_
	.p2align	8
	.type	_Z6kernelI14subtract_rightLj256ELj4ELb0EJPfS1_jEEvDpT3_,@function
_Z6kernelI14subtract_rightLj256ELj4ELb0EJPfS1_jEEvDpT3_: ; @_Z6kernelI14subtract_rightLj256ELj4ELb0EJPfS1_jEEvDpT3_
; %bb.0:
	s_load_b128 s[4:7], s[0:1], 0x0
	s_mov_b32 s3, 0
	s_lshl_b32 s2, s15, 10
	v_lshlrev_b32_e32 v1, 2, v0
	s_lshl_b64 s[2:3], s[2:3], 2
	s_load_b32 s0, s[0:1], 0x10
	s_waitcnt lgkmcnt(0)
	s_add_u32 s4, s4, s2
	s_addc_u32 s5, s5, s3
	s_clause 0x3
	global_load_b32 v5, v1, s[4:5]
	global_load_b32 v4, v1, s[4:5] offset:1024
	global_load_b32 v3, v1, s[4:5] offset:2048
	;; [unrolled: 1-line block ×3, first 2 shown]
	s_cmp_eq_u32 s0, 0
	s_cbranch_scc1 .LBB68_5
; %bb.1:
	v_cmp_ne_u32_e32 vcc_lo, 0xff, v0
	v_or_b32_e32 v0, 0x400, v1
	s_branch .LBB68_3
	.p2align	6
.LBB68_2:                               ;   in Loop: Header=BB68_3 Depth=1
	s_or_b32 exec_lo, exec_lo, s1
	v_dual_sub_f32 v7, v5, v4 :: v_dual_sub_f32 v8, v4, v3
	v_sub_f32_e32 v9, v3, v2
	s_add_i32 s0, s0, -1
	s_delay_alu instid0(VALU_DEP_2) | instskip(NEXT) | instid1(VALU_DEP_2)
	v_dual_add_f32 v5, v5, v7 :: v_dual_add_f32 v2, v2, v6
	v_dual_add_f32 v4, v4, v8 :: v_dual_add_f32 v3, v3, v9
	s_cmp_lg_u32 s0, 0
	s_barrier
	buffer_gl0_inv
	s_cbranch_scc0 .LBB68_5
.LBB68_3:                               ; =>This Inner Loop Header: Depth=1
	s_waitcnt vmcnt(0)
	v_mov_b32_e32 v6, v2
	ds_store_b32 v1, v5 offset:1024
	s_waitcnt lgkmcnt(0)
	s_barrier
	buffer_gl0_inv
	s_and_saveexec_b32 s1, vcc_lo
	s_cbranch_execz .LBB68_2
; %bb.4:                                ;   in Loop: Header=BB68_3 Depth=1
	ds_load_b32 v6, v0 offset:4
	s_waitcnt lgkmcnt(0)
	v_sub_f32_e32 v6, v2, v6
	s_branch .LBB68_2
.LBB68_5:
	s_add_u32 s0, s6, s2
	s_addc_u32 s1, s7, s3
	s_waitcnt vmcnt(3)
	global_store_b32 v1, v5, s[0:1]
	s_waitcnt vmcnt(2)
	global_store_b32 v1, v4, s[0:1] offset:1024
	s_waitcnt vmcnt(1)
	global_store_b32 v1, v3, s[0:1] offset:2048
	;; [unrolled: 2-line block ×3, first 2 shown]
	s_nop 0
	s_sendmsg sendmsg(MSG_DEALLOC_VGPRS)
	s_endpgm
	.section	.rodata,"a",@progbits
	.p2align	6, 0x0
	.amdhsa_kernel _Z6kernelI14subtract_rightLj256ELj4ELb0EJPfS1_jEEvDpT3_
		.amdhsa_group_segment_fixed_size 2048
		.amdhsa_private_segment_fixed_size 0
		.amdhsa_kernarg_size 20
		.amdhsa_user_sgpr_count 15
		.amdhsa_user_sgpr_dispatch_ptr 0
		.amdhsa_user_sgpr_queue_ptr 0
		.amdhsa_user_sgpr_kernarg_segment_ptr 1
		.amdhsa_user_sgpr_dispatch_id 0
		.amdhsa_user_sgpr_private_segment_size 0
		.amdhsa_wavefront_size32 1
		.amdhsa_uses_dynamic_stack 0
		.amdhsa_enable_private_segment 0
		.amdhsa_system_sgpr_workgroup_id_x 1
		.amdhsa_system_sgpr_workgroup_id_y 0
		.amdhsa_system_sgpr_workgroup_id_z 0
		.amdhsa_system_sgpr_workgroup_info 0
		.amdhsa_system_vgpr_workitem_id 0
		.amdhsa_next_free_vgpr 10
		.amdhsa_next_free_sgpr 16
		.amdhsa_reserve_vcc 1
		.amdhsa_float_round_mode_32 0
		.amdhsa_float_round_mode_16_64 0
		.amdhsa_float_denorm_mode_32 3
		.amdhsa_float_denorm_mode_16_64 3
		.amdhsa_dx10_clamp 1
		.amdhsa_ieee_mode 1
		.amdhsa_fp16_overflow 0
		.amdhsa_workgroup_processor_mode 1
		.amdhsa_memory_ordered 1
		.amdhsa_forward_progress 0
		.amdhsa_shared_vgpr_count 0
		.amdhsa_exception_fp_ieee_invalid_op 0
		.amdhsa_exception_fp_denorm_src 0
		.amdhsa_exception_fp_ieee_div_zero 0
		.amdhsa_exception_fp_ieee_overflow 0
		.amdhsa_exception_fp_ieee_underflow 0
		.amdhsa_exception_fp_ieee_inexact 0
		.amdhsa_exception_int_div_zero 0
	.end_amdhsa_kernel
	.section	.text._Z6kernelI14subtract_rightLj256ELj4ELb0EJPfS1_jEEvDpT3_,"axG",@progbits,_Z6kernelI14subtract_rightLj256ELj4ELb0EJPfS1_jEEvDpT3_,comdat
.Lfunc_end68:
	.size	_Z6kernelI14subtract_rightLj256ELj4ELb0EJPfS1_jEEvDpT3_, .Lfunc_end68-_Z6kernelI14subtract_rightLj256ELj4ELb0EJPfS1_jEEvDpT3_
                                        ; -- End function
	.section	.AMDGPU.csdata,"",@progbits
; Kernel info:
; codeLenInByte = 296
; NumSgprs: 18
; NumVgprs: 10
; ScratchSize: 0
; MemoryBound: 0
; FloatMode: 240
; IeeeMode: 1
; LDSByteSize: 2048 bytes/workgroup (compile time only)
; SGPRBlocks: 2
; VGPRBlocks: 1
; NumSGPRsForWavesPerEU: 18
; NumVGPRsForWavesPerEU: 10
; Occupancy: 16
; WaveLimiterHint : 1
; COMPUTE_PGM_RSRC2:SCRATCH_EN: 0
; COMPUTE_PGM_RSRC2:USER_SGPR: 15
; COMPUTE_PGM_RSRC2:TRAP_HANDLER: 0
; COMPUTE_PGM_RSRC2:TGID_X_EN: 1
; COMPUTE_PGM_RSRC2:TGID_Y_EN: 0
; COMPUTE_PGM_RSRC2:TGID_Z_EN: 0
; COMPUTE_PGM_RSRC2:TIDIG_COMP_CNT: 0
	.section	.text._Z6kernelI14subtract_rightLj256ELj8ELb0EJPfS1_jEEvDpT3_,"axG",@progbits,_Z6kernelI14subtract_rightLj256ELj8ELb0EJPfS1_jEEvDpT3_,comdat
	.protected	_Z6kernelI14subtract_rightLj256ELj8ELb0EJPfS1_jEEvDpT3_ ; -- Begin function _Z6kernelI14subtract_rightLj256ELj8ELb0EJPfS1_jEEvDpT3_
	.globl	_Z6kernelI14subtract_rightLj256ELj8ELb0EJPfS1_jEEvDpT3_
	.p2align	8
	.type	_Z6kernelI14subtract_rightLj256ELj8ELb0EJPfS1_jEEvDpT3_,@function
_Z6kernelI14subtract_rightLj256ELj8ELb0EJPfS1_jEEvDpT3_: ; @_Z6kernelI14subtract_rightLj256ELj8ELb0EJPfS1_jEEvDpT3_
; %bb.0:
	s_load_b128 s[4:7], s[0:1], 0x0
	s_mov_b32 s3, 0
	s_lshl_b32 s2, s15, 11
	v_lshlrev_b32_e32 v1, 2, v0
	s_lshl_b64 s[2:3], s[2:3], 2
	s_load_b32 s0, s[0:1], 0x10
	s_waitcnt lgkmcnt(0)
	s_add_u32 s4, s4, s2
	s_addc_u32 s5, s5, s3
	v_add_co_u32 v2, s1, s4, v1
	s_delay_alu instid0(VALU_DEP_1) | instskip(SKIP_1) | instid1(VALU_DEP_2)
	v_add_co_ci_u32_e64 v3, null, s5, 0, s1
	s_cmp_eq_u32 s0, 0
	v_add_co_u32 v10, vcc_lo, 0x1000, v2
	s_delay_alu instid0(VALU_DEP_2)
	v_add_co_ci_u32_e32 v11, vcc_lo, 0, v3, vcc_lo
	s_clause 0x7
	global_load_b32 v9, v1, s[4:5]
	global_load_b32 v8, v1, s[4:5] offset:1024
	global_load_b32 v7, v1, s[4:5] offset:2048
	;; [unrolled: 1-line block ×3, first 2 shown]
	global_load_b32 v5, v[10:11], off
	global_load_b32 v4, v[10:11], off offset:1024
	global_load_b32 v3, v[10:11], off offset:2048
	;; [unrolled: 1-line block ×3, first 2 shown]
	s_cbranch_scc1 .LBB69_5
; %bb.1:
	v_cmp_ne_u32_e32 vcc_lo, 0xff, v0
	v_or_b32_e32 v0, 0x400, v1
	s_set_inst_prefetch_distance 0x1
	s_branch .LBB69_3
	.p2align	6
.LBB69_2:                               ;   in Loop: Header=BB69_3 Depth=1
	s_or_b32 exec_lo, exec_lo, s1
	v_dual_sub_f32 v11, v9, v8 :: v_dual_sub_f32 v12, v8, v7
	v_dual_sub_f32 v13, v7, v6 :: v_dual_sub_f32 v14, v6, v5
	;; [unrolled: 1-line block ×3, first 2 shown]
	s_delay_alu instid0(VALU_DEP_3) | instskip(NEXT) | instid1(VALU_DEP_3)
	v_dual_sub_f32 v17, v3, v2 :: v_dual_add_f32 v8, v8, v12
	v_dual_add_f32 v9, v9, v11 :: v_dual_add_f32 v6, v6, v14
	s_delay_alu instid0(VALU_DEP_3) | instskip(NEXT) | instid1(VALU_DEP_4)
	v_dual_add_f32 v7, v7, v13 :: v_dual_add_f32 v4, v4, v16
	v_dual_add_f32 v5, v5, v15 :: v_dual_add_f32 v2, v2, v10
	s_delay_alu instid0(VALU_DEP_4) | instskip(SKIP_1) | instid1(SALU_CYCLE_1)
	v_add_f32_e32 v3, v3, v17
	s_add_i32 s0, s0, -1
	s_cmp_lg_u32 s0, 0
	s_barrier
	buffer_gl0_inv
	s_cbranch_scc0 .LBB69_5
.LBB69_3:                               ; =>This Inner Loop Header: Depth=1
	s_waitcnt vmcnt(0)
	v_mov_b32_e32 v10, v2
	ds_store_b32 v1, v9 offset:1024
	s_waitcnt lgkmcnt(0)
	s_barrier
	buffer_gl0_inv
	s_and_saveexec_b32 s1, vcc_lo
	s_cbranch_execz .LBB69_2
; %bb.4:                                ;   in Loop: Header=BB69_3 Depth=1
	ds_load_b32 v10, v0 offset:4
	s_waitcnt lgkmcnt(0)
	v_sub_f32_e32 v10, v2, v10
	s_branch .LBB69_2
.LBB69_5:
	s_set_inst_prefetch_distance 0x2
	s_add_u32 s0, s6, s2
	s_addc_u32 s1, s7, s3
	v_add_co_u32 v0, s2, s0, v1
	s_delay_alu instid0(VALU_DEP_1) | instskip(NEXT) | instid1(VALU_DEP_2)
	v_add_co_ci_u32_e64 v11, null, s1, 0, s2
	v_add_co_u32 v10, vcc_lo, 0x1000, v0
	s_delay_alu instid0(VALU_DEP_2)
	v_add_co_ci_u32_e32 v11, vcc_lo, 0, v11, vcc_lo
	s_waitcnt vmcnt(7)
	global_store_b32 v1, v9, s[0:1]
	s_waitcnt vmcnt(6)
	global_store_b32 v1, v8, s[0:1] offset:1024
	s_waitcnt vmcnt(5)
	global_store_b32 v1, v7, s[0:1] offset:2048
	;; [unrolled: 2-line block ×3, first 2 shown]
	s_waitcnt vmcnt(3)
	global_store_b32 v[10:11], v5, off
	s_waitcnt vmcnt(2)
	global_store_b32 v[10:11], v4, off offset:1024
	s_waitcnt vmcnt(1)
	global_store_b32 v[10:11], v3, off offset:2048
	;; [unrolled: 2-line block ×3, first 2 shown]
	s_nop 0
	s_sendmsg sendmsg(MSG_DEALLOC_VGPRS)
	s_endpgm
	.section	.rodata,"a",@progbits
	.p2align	6, 0x0
	.amdhsa_kernel _Z6kernelI14subtract_rightLj256ELj8ELb0EJPfS1_jEEvDpT3_
		.amdhsa_group_segment_fixed_size 2048
		.amdhsa_private_segment_fixed_size 0
		.amdhsa_kernarg_size 20
		.amdhsa_user_sgpr_count 15
		.amdhsa_user_sgpr_dispatch_ptr 0
		.amdhsa_user_sgpr_queue_ptr 0
		.amdhsa_user_sgpr_kernarg_segment_ptr 1
		.amdhsa_user_sgpr_dispatch_id 0
		.amdhsa_user_sgpr_private_segment_size 0
		.amdhsa_wavefront_size32 1
		.amdhsa_uses_dynamic_stack 0
		.amdhsa_enable_private_segment 0
		.amdhsa_system_sgpr_workgroup_id_x 1
		.amdhsa_system_sgpr_workgroup_id_y 0
		.amdhsa_system_sgpr_workgroup_id_z 0
		.amdhsa_system_sgpr_workgroup_info 0
		.amdhsa_system_vgpr_workitem_id 0
		.amdhsa_next_free_vgpr 18
		.amdhsa_next_free_sgpr 16
		.amdhsa_reserve_vcc 1
		.amdhsa_float_round_mode_32 0
		.amdhsa_float_round_mode_16_64 0
		.amdhsa_float_denorm_mode_32 3
		.amdhsa_float_denorm_mode_16_64 3
		.amdhsa_dx10_clamp 1
		.amdhsa_ieee_mode 1
		.amdhsa_fp16_overflow 0
		.amdhsa_workgroup_processor_mode 1
		.amdhsa_memory_ordered 1
		.amdhsa_forward_progress 0
		.amdhsa_shared_vgpr_count 0
		.amdhsa_exception_fp_ieee_invalid_op 0
		.amdhsa_exception_fp_denorm_src 0
		.amdhsa_exception_fp_ieee_div_zero 0
		.amdhsa_exception_fp_ieee_overflow 0
		.amdhsa_exception_fp_ieee_underflow 0
		.amdhsa_exception_fp_ieee_inexact 0
		.amdhsa_exception_int_div_zero 0
	.end_amdhsa_kernel
	.section	.text._Z6kernelI14subtract_rightLj256ELj8ELb0EJPfS1_jEEvDpT3_,"axG",@progbits,_Z6kernelI14subtract_rightLj256ELj8ELb0EJPfS1_jEEvDpT3_,comdat
.Lfunc_end69:
	.size	_Z6kernelI14subtract_rightLj256ELj8ELb0EJPfS1_jEEvDpT3_, .Lfunc_end69-_Z6kernelI14subtract_rightLj256ELj8ELb0EJPfS1_jEEvDpT3_
                                        ; -- End function
	.section	.AMDGPU.csdata,"",@progbits
; Kernel info:
; codeLenInByte = 504
; NumSgprs: 18
; NumVgprs: 18
; ScratchSize: 0
; MemoryBound: 0
; FloatMode: 240
; IeeeMode: 1
; LDSByteSize: 2048 bytes/workgroup (compile time only)
; SGPRBlocks: 2
; VGPRBlocks: 2
; NumSGPRsForWavesPerEU: 18
; NumVGPRsForWavesPerEU: 18
; Occupancy: 16
; WaveLimiterHint : 1
; COMPUTE_PGM_RSRC2:SCRATCH_EN: 0
; COMPUTE_PGM_RSRC2:USER_SGPR: 15
; COMPUTE_PGM_RSRC2:TRAP_HANDLER: 0
; COMPUTE_PGM_RSRC2:TGID_X_EN: 1
; COMPUTE_PGM_RSRC2:TGID_Y_EN: 0
; COMPUTE_PGM_RSRC2:TGID_Z_EN: 0
; COMPUTE_PGM_RSRC2:TIDIG_COMP_CNT: 0
	.section	.text._Z6kernelI14subtract_rightLj256ELj16ELb0EJPfS1_jEEvDpT3_,"axG",@progbits,_Z6kernelI14subtract_rightLj256ELj16ELb0EJPfS1_jEEvDpT3_,comdat
	.protected	_Z6kernelI14subtract_rightLj256ELj16ELb0EJPfS1_jEEvDpT3_ ; -- Begin function _Z6kernelI14subtract_rightLj256ELj16ELb0EJPfS1_jEEvDpT3_
	.globl	_Z6kernelI14subtract_rightLj256ELj16ELb0EJPfS1_jEEvDpT3_
	.p2align	8
	.type	_Z6kernelI14subtract_rightLj256ELj16ELb0EJPfS1_jEEvDpT3_,@function
_Z6kernelI14subtract_rightLj256ELj16ELb0EJPfS1_jEEvDpT3_: ; @_Z6kernelI14subtract_rightLj256ELj16ELb0EJPfS1_jEEvDpT3_
; %bb.0:
	s_load_b128 s[4:7], s[0:1], 0x0
	s_mov_b32 s3, 0
	s_lshl_b32 s2, s15, 12
	v_lshlrev_b32_e32 v1, 2, v0
	s_lshl_b64 s[2:3], s[2:3], 2
	s_load_b32 s0, s[0:1], 0x10
	s_waitcnt lgkmcnt(0)
	s_add_u32 s4, s4, s2
	s_addc_u32 s5, s5, s3
	v_add_co_u32 v6, s1, s4, v1
	s_delay_alu instid0(VALU_DEP_1) | instskip(SKIP_1) | instid1(VALU_DEP_2)
	v_add_co_ci_u32_e64 v7, null, s5, 0, s1
	s_cmp_eq_u32 s0, 0
	v_add_co_u32 v2, vcc_lo, 0x1000, v6
	s_delay_alu instid0(VALU_DEP_2)
	v_add_co_ci_u32_e32 v3, vcc_lo, 0, v7, vcc_lo
	v_add_co_u32 v18, vcc_lo, v6, 0x2000
	v_add_co_ci_u32_e32 v19, vcc_lo, 0, v7, vcc_lo
	v_add_co_u32 v4, vcc_lo, 0x2000, v6
	v_add_co_ci_u32_e32 v5, vcc_lo, 0, v7, vcc_lo
	v_add_co_u32 v20, vcc_lo, 0x3000, v6
	v_add_co_ci_u32_e32 v21, vcc_lo, 0, v7, vcc_lo
	s_clause 0xf
	global_load_b32 v17, v[18:19], off
	global_load_b32 v16, v1, s[4:5]
	global_load_b32 v15, v1, s[4:5] offset:1024
	global_load_b32 v14, v1, s[4:5] offset:2048
	;; [unrolled: 1-line block ×3, first 2 shown]
	global_load_b32 v11, v[2:3], off offset:1024
	global_load_b32 v10, v[2:3], off offset:2048
	;; [unrolled: 1-line block ×6, first 2 shown]
	global_load_b32 v5, v[20:21], off
	global_load_b32 v4, v[20:21], off offset:1024
	global_load_b32 v3, v[20:21], off offset:2048
	global_load_b32 v12, v[18:19], off offset:-4096
	global_load_b32 v2, v[20:21], off offset:3072
	s_cbranch_scc1 .LBB70_5
; %bb.1:
	v_cmp_ne_u32_e32 vcc_lo, 0xff, v0
	v_or_b32_e32 v0, 0x400, v1
	s_set_inst_prefetch_distance 0x1
	s_branch .LBB70_3
	.p2align	6
.LBB70_2:                               ;   in Loop: Header=BB70_3 Depth=1
	s_or_b32 exec_lo, exec_lo, s1
	v_dual_sub_f32 v19, v16, v15 :: v_dual_sub_f32 v20, v15, v14
	v_dual_sub_f32 v21, v14, v13 :: v_dual_sub_f32 v22, v13, v12
	v_dual_sub_f32 v23, v12, v11 :: v_dual_sub_f32 v24, v11, v10
	v_dual_sub_f32 v25, v10, v9 :: v_dual_sub_f32 v28, v8, v7
	v_dual_sub_f32 v26, v9, v17 :: v_dual_sub_f32 v29, v7, v6
	v_dual_sub_f32 v27, v17, v8 :: v_dual_sub_f32 v30, v6, v5
	v_dual_sub_f32 v31, v5, v4 :: v_dual_sub_f32 v32, v4, v3
	v_dual_sub_f32 v33, v3, v2 :: v_dual_add_f32 v16, v16, v19
	v_dual_add_f32 v15, v15, v20 :: v_dual_add_f32 v14, v14, v21
	v_dual_add_f32 v13, v13, v22 :: v_dual_add_f32 v12, v12, v23
	v_dual_add_f32 v11, v11, v24 :: v_dual_add_f32 v10, v10, v25
	v_dual_add_f32 v9, v9, v26 :: v_dual_add_f32 v8, v8, v28
	v_dual_add_f32 v17, v17, v27 :: v_dual_add_f32 v6, v6, v30
	v_dual_add_f32 v7, v7, v29 :: v_dual_add_f32 v4, v4, v32
	v_dual_add_f32 v5, v5, v31 :: v_dual_add_f32 v2, v2, v18
	v_add_f32_e32 v3, v3, v33
	s_add_i32 s0, s0, -1
	s_delay_alu instid0(SALU_CYCLE_1)
	s_cmp_lg_u32 s0, 0
	s_barrier
	buffer_gl0_inv
	s_cbranch_scc0 .LBB70_5
.LBB70_3:                               ; =>This Inner Loop Header: Depth=1
	s_waitcnt vmcnt(0)
	v_mov_b32_e32 v18, v2
	ds_store_b32 v1, v16 offset:1024
	s_waitcnt lgkmcnt(0)
	s_barrier
	buffer_gl0_inv
	s_and_saveexec_b32 s1, vcc_lo
	s_cbranch_execz .LBB70_2
; %bb.4:                                ;   in Loop: Header=BB70_3 Depth=1
	ds_load_b32 v18, v0 offset:4
	s_waitcnt lgkmcnt(0)
	v_sub_f32_e32 v18, v2, v18
	s_branch .LBB70_2
.LBB70_5:
	s_set_inst_prefetch_distance 0x2
	s_add_u32 s0, s6, s2
	s_addc_u32 s1, s7, s3
	v_add_co_u32 v0, s2, s0, v1
	s_delay_alu instid0(VALU_DEP_1) | instskip(NEXT) | instid1(VALU_DEP_2)
	v_add_co_ci_u32_e64 v25, null, s1, 0, s2
	v_add_co_u32 v18, vcc_lo, 0x1000, v0
	s_delay_alu instid0(VALU_DEP_2)
	v_add_co_ci_u32_e32 v19, vcc_lo, 0, v25, vcc_lo
	v_add_co_u32 v20, vcc_lo, v0, 0x2000
	v_add_co_ci_u32_e32 v21, vcc_lo, 0, v25, vcc_lo
	v_add_co_u32 v22, vcc_lo, 0x2000, v0
	;; [unrolled: 2-line block ×3, first 2 shown]
	s_waitcnt vmcnt(15)
	global_store_b32 v[20:21], v17, off
	v_add_co_ci_u32_e32 v25, vcc_lo, 0, v25, vcc_lo
	s_waitcnt vmcnt(14)
	global_store_b32 v1, v16, s[0:1]
	s_waitcnt vmcnt(13)
	global_store_b32 v1, v15, s[0:1] offset:1024
	s_waitcnt vmcnt(12)
	global_store_b32 v1, v14, s[0:1] offset:2048
	;; [unrolled: 2-line block ×3, first 2 shown]
	s_waitcnt vmcnt(10)
	global_store_b32 v[18:19], v11, off offset:1024
	s_waitcnt vmcnt(9)
	global_store_b32 v[18:19], v10, off offset:2048
	;; [unrolled: 2-line block ×6, first 2 shown]
	s_waitcnt vmcnt(4)
	global_store_b32 v[24:25], v5, off
	s_waitcnt vmcnt(3)
	global_store_b32 v[24:25], v4, off offset:1024
	s_waitcnt vmcnt(2)
	global_store_b32 v[24:25], v3, off offset:2048
	s_waitcnt vmcnt(1)
	global_store_b32 v[20:21], v12, off offset:-4096
	s_waitcnt vmcnt(0)
	global_store_b32 v[24:25], v2, off offset:3072
	s_nop 0
	s_sendmsg sendmsg(MSG_DEALLOC_VGPRS)
	s_endpgm
	.section	.rodata,"a",@progbits
	.p2align	6, 0x0
	.amdhsa_kernel _Z6kernelI14subtract_rightLj256ELj16ELb0EJPfS1_jEEvDpT3_
		.amdhsa_group_segment_fixed_size 2048
		.amdhsa_private_segment_fixed_size 0
		.amdhsa_kernarg_size 20
		.amdhsa_user_sgpr_count 15
		.amdhsa_user_sgpr_dispatch_ptr 0
		.amdhsa_user_sgpr_queue_ptr 0
		.amdhsa_user_sgpr_kernarg_segment_ptr 1
		.amdhsa_user_sgpr_dispatch_id 0
		.amdhsa_user_sgpr_private_segment_size 0
		.amdhsa_wavefront_size32 1
		.amdhsa_uses_dynamic_stack 0
		.amdhsa_enable_private_segment 0
		.amdhsa_system_sgpr_workgroup_id_x 1
		.amdhsa_system_sgpr_workgroup_id_y 0
		.amdhsa_system_sgpr_workgroup_id_z 0
		.amdhsa_system_sgpr_workgroup_info 0
		.amdhsa_system_vgpr_workitem_id 0
		.amdhsa_next_free_vgpr 34
		.amdhsa_next_free_sgpr 16
		.amdhsa_reserve_vcc 1
		.amdhsa_float_round_mode_32 0
		.amdhsa_float_round_mode_16_64 0
		.amdhsa_float_denorm_mode_32 3
		.amdhsa_float_denorm_mode_16_64 3
		.amdhsa_dx10_clamp 1
		.amdhsa_ieee_mode 1
		.amdhsa_fp16_overflow 0
		.amdhsa_workgroup_processor_mode 1
		.amdhsa_memory_ordered 1
		.amdhsa_forward_progress 0
		.amdhsa_shared_vgpr_count 0
		.amdhsa_exception_fp_ieee_invalid_op 0
		.amdhsa_exception_fp_denorm_src 0
		.amdhsa_exception_fp_ieee_div_zero 0
		.amdhsa_exception_fp_ieee_overflow 0
		.amdhsa_exception_fp_ieee_underflow 0
		.amdhsa_exception_fp_ieee_inexact 0
		.amdhsa_exception_int_div_zero 0
	.end_amdhsa_kernel
	.section	.text._Z6kernelI14subtract_rightLj256ELj16ELb0EJPfS1_jEEvDpT3_,"axG",@progbits,_Z6kernelI14subtract_rightLj256ELj16ELb0EJPfS1_jEEvDpT3_,comdat
.Lfunc_end70:
	.size	_Z6kernelI14subtract_rightLj256ELj16ELb0EJPfS1_jEEvDpT3_, .Lfunc_end70-_Z6kernelI14subtract_rightLj256ELj16ELb0EJPfS1_jEEvDpT3_
                                        ; -- End function
	.section	.AMDGPU.csdata,"",@progbits
; Kernel info:
; codeLenInByte = 816
; NumSgprs: 18
; NumVgprs: 34
; ScratchSize: 0
; MemoryBound: 0
; FloatMode: 240
; IeeeMode: 1
; LDSByteSize: 2048 bytes/workgroup (compile time only)
; SGPRBlocks: 2
; VGPRBlocks: 4
; NumSGPRsForWavesPerEU: 18
; NumVGPRsForWavesPerEU: 34
; Occupancy: 16
; WaveLimiterHint : 1
; COMPUTE_PGM_RSRC2:SCRATCH_EN: 0
; COMPUTE_PGM_RSRC2:USER_SGPR: 15
; COMPUTE_PGM_RSRC2:TRAP_HANDLER: 0
; COMPUTE_PGM_RSRC2:TGID_X_EN: 1
; COMPUTE_PGM_RSRC2:TGID_Y_EN: 0
; COMPUTE_PGM_RSRC2:TGID_Z_EN: 0
; COMPUTE_PGM_RSRC2:TIDIG_COMP_CNT: 0
	.section	.text._Z6kernelI14subtract_rightLj256ELj32ELb0EJPfS1_jEEvDpT3_,"axG",@progbits,_Z6kernelI14subtract_rightLj256ELj32ELb0EJPfS1_jEEvDpT3_,comdat
	.protected	_Z6kernelI14subtract_rightLj256ELj32ELb0EJPfS1_jEEvDpT3_ ; -- Begin function _Z6kernelI14subtract_rightLj256ELj32ELb0EJPfS1_jEEvDpT3_
	.globl	_Z6kernelI14subtract_rightLj256ELj32ELb0EJPfS1_jEEvDpT3_
	.p2align	8
	.type	_Z6kernelI14subtract_rightLj256ELj32ELb0EJPfS1_jEEvDpT3_,@function
_Z6kernelI14subtract_rightLj256ELj32ELb0EJPfS1_jEEvDpT3_: ; @_Z6kernelI14subtract_rightLj256ELj32ELb0EJPfS1_jEEvDpT3_
; %bb.0:
	s_load_b128 s[4:7], s[0:1], 0x0
	s_mov_b32 s3, 0
	s_lshl_b32 s2, s15, 13
	v_lshlrev_b32_e32 v1, 2, v0
	s_lshl_b64 s[2:3], s[2:3], 2
	s_load_b32 s0, s[0:1], 0x10
	s_waitcnt lgkmcnt(0)
	s_add_u32 s4, s4, s2
	s_addc_u32 s5, s5, s3
	v_add_co_u32 v10, s1, s4, v1
	s_delay_alu instid0(VALU_DEP_1) | instskip(SKIP_1) | instid1(VALU_DEP_2)
	v_add_co_ci_u32_e64 v11, null, s5, 0, s1
	s_cmp_eq_u32 s0, 0
	v_add_co_u32 v2, vcc_lo, 0x1000, v10
	s_delay_alu instid0(VALU_DEP_2)
	v_add_co_ci_u32_e32 v3, vcc_lo, 0, v11, vcc_lo
	v_add_co_u32 v34, vcc_lo, v10, 0x2000
	v_add_co_ci_u32_e32 v35, vcc_lo, 0, v11, vcc_lo
	v_add_co_u32 v4, vcc_lo, 0x2000, v10
	v_add_co_ci_u32_e32 v5, vcc_lo, 0, v11, vcc_lo
	s_clause 0x7
	global_load_b32 v33, v1, s[4:5]
	global_load_b32 v32, v1, s[4:5] offset:1024
	global_load_b32 v31, v1, s[4:5] offset:2048
	;; [unrolled: 1-line block ×3, first 2 shown]
	global_load_b32 v28, v[2:3], off offset:1024
	global_load_b32 v27, v[2:3], off offset:2048
	;; [unrolled: 1-line block ×4, first 2 shown]
	v_add_co_u32 v2, vcc_lo, 0x3000, v10
	v_add_co_ci_u32_e32 v3, vcc_lo, 0, v11, vcc_lo
	v_add_co_u32 v6, vcc_lo, v10, 0x4000
	v_add_co_ci_u32_e32 v7, vcc_lo, 0, v11, vcc_lo
	;; [unrolled: 2-line block ×3, first 2 shown]
	s_clause 0x7
	global_load_b32 v23, v[4:5], off offset:2048
	global_load_b32 v22, v[4:5], off offset:3072
	;; [unrolled: 1-line block ×8, first 2 shown]
	v_add_co_u32 v2, vcc_lo, 0x5000, v10
	v_add_co_ci_u32_e32 v3, vcc_lo, 0, v11, vcc_lo
	v_add_co_u32 v4, vcc_lo, v10, 0x6000
	v_add_co_ci_u32_e32 v5, vcc_lo, 0, v11, vcc_lo
	;; [unrolled: 2-line block ×3, first 2 shown]
	v_add_co_u32 v38, vcc_lo, 0x7000, v10
	s_clause 0x4
	global_load_b32 v25, v[34:35], off
	global_load_b32 v21, v[6:7], off offset:-4096
	global_load_b32 v17, v[6:7], off
	global_load_b32 v13, v[4:5], off offset:-4096
	global_load_b32 v9, v[4:5], off
	v_add_co_ci_u32_e32 v39, vcc_lo, 0, v11, vcc_lo
	s_clause 0xa
	global_load_b32 v12, v[2:3], off offset:1024
	global_load_b32 v11, v[2:3], off offset:2048
	;; [unrolled: 1-line block ×6, first 2 shown]
	global_load_b32 v5, v[38:39], off
	global_load_b32 v4, v[38:39], off offset:1024
	global_load_b32 v3, v[38:39], off offset:2048
	global_load_b32 v29, v[34:35], off offset:-4096
	global_load_b32 v2, v[38:39], off offset:3072
	s_cbranch_scc1 .LBB71_5
; %bb.1:
	v_cmp_ne_u32_e32 vcc_lo, 0xff, v0
	v_or_b32_e32 v0, 0x400, v1
	s_branch .LBB71_3
.LBB71_2:                               ;   in Loop: Header=BB71_3 Depth=1
	s_or_b32 exec_lo, exec_lo, s1
	v_dual_sub_f32 v35, v33, v32 :: v_dual_sub_f32 v36, v32, v31
	v_dual_sub_f32 v37, v31, v30 :: v_dual_sub_f32 v38, v30, v29
	v_dual_sub_f32 v39, v29, v28 :: v_dual_sub_f32 v40, v28, v27
	v_dual_sub_f32 v41, v27, v26 :: v_dual_sub_f32 v42, v26, v25
	v_dual_sub_f32 v43, v25, v24 :: v_dual_sub_f32 v44, v24, v23
	v_dual_sub_f32 v45, v23, v22 :: v_dual_sub_f32 v46, v22, v21
	v_dual_sub_f32 v47, v21, v20 :: v_dual_sub_f32 v48, v20, v19
	v_dual_sub_f32 v49, v19, v18 :: v_dual_sub_f32 v50, v18, v17
	v_dual_sub_f32 v51, v17, v16 :: v_dual_sub_f32 v52, v16, v15
	v_dual_sub_f32 v53, v15, v14 :: v_dual_sub_f32 v54, v14, v13
	v_dual_sub_f32 v55, v13, v12 :: v_dual_sub_f32 v56, v12, v11
	v_dual_sub_f32 v57, v11, v10 :: v_dual_sub_f32 v58, v10, v9
	v_dual_sub_f32 v59, v9, v8 :: v_dual_sub_f32 v60, v8, v7
	v_dual_sub_f32 v61, v7, v6 :: v_dual_sub_f32 v62, v6, v5
	v_dual_sub_f32 v63, v5, v4 :: v_dual_sub_f32 v64, v4, v3
	v_dual_sub_f32 v65, v3, v2 :: v_dual_add_f32 v32, v32, v36
	v_dual_add_f32 v33, v33, v35 :: v_dual_add_f32 v30, v30, v38
	v_dual_add_f32 v31, v31, v37 :: v_dual_add_f32 v28, v28, v40
	;; [unrolled: 1-line block ×15, first 2 shown]
	v_add_f32_e32 v3, v3, v65
	s_add_i32 s0, s0, -1
	s_delay_alu instid0(SALU_CYCLE_1)
	s_cmp_lg_u32 s0, 0
	s_barrier
	buffer_gl0_inv
	s_cbranch_scc0 .LBB71_5
.LBB71_3:                               ; =>This Inner Loop Header: Depth=1
	s_waitcnt vmcnt(0)
	v_mov_b32_e32 v34, v2
	ds_store_b32 v1, v33 offset:1024
	s_waitcnt lgkmcnt(0)
	s_barrier
	buffer_gl0_inv
	s_and_saveexec_b32 s1, vcc_lo
	s_cbranch_execz .LBB71_2
; %bb.4:                                ;   in Loop: Header=BB71_3 Depth=1
	ds_load_b32 v34, v0 offset:4
	s_waitcnt lgkmcnt(0)
	v_sub_f32_e32 v34, v2, v34
	s_branch .LBB71_2
.LBB71_5:
	s_add_u32 s0, s6, s2
	s_addc_u32 s1, s7, s3
	v_add_co_u32 v40, s2, s0, v1
	s_delay_alu instid0(VALU_DEP_1) | instskip(NEXT) | instid1(VALU_DEP_2)
	v_add_co_ci_u32_e64 v41, null, s1, 0, s2
	v_add_co_u32 v34, vcc_lo, 0x1000, v40
	s_delay_alu instid0(VALU_DEP_2)
	v_add_co_ci_u32_e32 v35, vcc_lo, 0, v41, vcc_lo
	v_add_co_u32 v36, vcc_lo, v40, 0x2000
	v_add_co_ci_u32_e32 v37, vcc_lo, 0, v41, vcc_lo
	v_add_co_u32 v38, vcc_lo, 0x2000, v40
	;; [unrolled: 2-line block ×3, first 2 shown]
	s_waitcnt vmcnt(31)
	global_store_b32 v1, v33, s[0:1]
	s_waitcnt vmcnt(30)
	global_store_b32 v1, v32, s[0:1] offset:1024
	s_waitcnt vmcnt(29)
	global_store_b32 v1, v31, s[0:1] offset:2048
	;; [unrolled: 2-line block ×3, first 2 shown]
	s_waitcnt vmcnt(27)
	global_store_b32 v[34:35], v28, off offset:1024
	s_waitcnt vmcnt(26)
	global_store_b32 v[34:35], v27, off offset:2048
	;; [unrolled: 2-line block ×4, first 2 shown]
	v_add_co_ci_u32_e32 v1, vcc_lo, 0, v41, vcc_lo
	v_add_co_u32 v26, vcc_lo, v40, 0x4000
	v_add_co_ci_u32_e32 v27, vcc_lo, 0, v41, vcc_lo
	v_add_co_u32 v30, vcc_lo, 0x4000, v40
	v_add_co_ci_u32_e32 v31, vcc_lo, 0, v41, vcc_lo
	s_waitcnt vmcnt(23)
	global_store_b32 v[38:39], v23, off offset:2048
	s_waitcnt vmcnt(22)
	global_store_b32 v[38:39], v22, off offset:3072
	;; [unrolled: 2-line block ×8, first 2 shown]
	v_add_co_u32 v0, vcc_lo, 0x5000, v40
	v_add_co_ci_u32_e32 v1, vcc_lo, 0, v41, vcc_lo
	v_add_co_u32 v14, vcc_lo, v40, 0x6000
	v_add_co_ci_u32_e32 v15, vcc_lo, 0, v41, vcc_lo
	;; [unrolled: 2-line block ×3, first 2 shown]
	s_waitcnt vmcnt(15)
	global_store_b32 v[36:37], v25, off
	s_waitcnt vmcnt(14)
	global_store_b32 v[26:27], v21, off offset:-4096
	s_waitcnt vmcnt(13)
	global_store_b32 v[26:27], v17, off
	s_waitcnt vmcnt(12)
	global_store_b32 v[14:15], v13, off offset:-4096
	s_waitcnt vmcnt(11)
	global_store_b32 v[14:15], v9, off
	v_add_co_u32 v13, vcc_lo, 0x7000, v40
	v_add_co_ci_u32_e32 v14, vcc_lo, 0, v41, vcc_lo
	s_waitcnt vmcnt(10)
	global_store_b32 v[0:1], v12, off offset:1024
	s_waitcnt vmcnt(9)
	global_store_b32 v[0:1], v11, off offset:2048
	;; [unrolled: 2-line block ×6, first 2 shown]
	s_waitcnt vmcnt(4)
	global_store_b32 v[13:14], v5, off
	s_waitcnt vmcnt(3)
	global_store_b32 v[13:14], v4, off offset:1024
	s_waitcnt vmcnt(2)
	global_store_b32 v[13:14], v3, off offset:2048
	s_waitcnt vmcnt(1)
	global_store_b32 v[36:37], v29, off offset:-4096
	s_waitcnt vmcnt(0)
	global_store_b32 v[13:14], v2, off offset:3072
	s_nop 0
	s_sendmsg sendmsg(MSG_DEALLOC_VGPRS)
	s_endpgm
	.section	.rodata,"a",@progbits
	.p2align	6, 0x0
	.amdhsa_kernel _Z6kernelI14subtract_rightLj256ELj32ELb0EJPfS1_jEEvDpT3_
		.amdhsa_group_segment_fixed_size 2048
		.amdhsa_private_segment_fixed_size 0
		.amdhsa_kernarg_size 20
		.amdhsa_user_sgpr_count 15
		.amdhsa_user_sgpr_dispatch_ptr 0
		.amdhsa_user_sgpr_queue_ptr 0
		.amdhsa_user_sgpr_kernarg_segment_ptr 1
		.amdhsa_user_sgpr_dispatch_id 0
		.amdhsa_user_sgpr_private_segment_size 0
		.amdhsa_wavefront_size32 1
		.amdhsa_uses_dynamic_stack 0
		.amdhsa_enable_private_segment 0
		.amdhsa_system_sgpr_workgroup_id_x 1
		.amdhsa_system_sgpr_workgroup_id_y 0
		.amdhsa_system_sgpr_workgroup_id_z 0
		.amdhsa_system_sgpr_workgroup_info 0
		.amdhsa_system_vgpr_workitem_id 0
		.amdhsa_next_free_vgpr 66
		.amdhsa_next_free_sgpr 16
		.amdhsa_reserve_vcc 1
		.amdhsa_float_round_mode_32 0
		.amdhsa_float_round_mode_16_64 0
		.amdhsa_float_denorm_mode_32 3
		.amdhsa_float_denorm_mode_16_64 3
		.amdhsa_dx10_clamp 1
		.amdhsa_ieee_mode 1
		.amdhsa_fp16_overflow 0
		.amdhsa_workgroup_processor_mode 1
		.amdhsa_memory_ordered 1
		.amdhsa_forward_progress 0
		.amdhsa_shared_vgpr_count 0
		.amdhsa_exception_fp_ieee_invalid_op 0
		.amdhsa_exception_fp_denorm_src 0
		.amdhsa_exception_fp_ieee_div_zero 0
		.amdhsa_exception_fp_ieee_overflow 0
		.amdhsa_exception_fp_ieee_underflow 0
		.amdhsa_exception_fp_ieee_inexact 0
		.amdhsa_exception_int_div_zero 0
	.end_amdhsa_kernel
	.section	.text._Z6kernelI14subtract_rightLj256ELj32ELb0EJPfS1_jEEvDpT3_,"axG",@progbits,_Z6kernelI14subtract_rightLj256ELj32ELb0EJPfS1_jEEvDpT3_,comdat
.Lfunc_end71:
	.size	_Z6kernelI14subtract_rightLj256ELj32ELb0EJPfS1_jEEvDpT3_, .Lfunc_end71-_Z6kernelI14subtract_rightLj256ELj32ELb0EJPfS1_jEEvDpT3_
                                        ; -- End function
	.section	.AMDGPU.csdata,"",@progbits
; Kernel info:
; codeLenInByte = 1460
; NumSgprs: 18
; NumVgprs: 66
; ScratchSize: 0
; MemoryBound: 0
; FloatMode: 240
; IeeeMode: 1
; LDSByteSize: 2048 bytes/workgroup (compile time only)
; SGPRBlocks: 2
; VGPRBlocks: 8
; NumSGPRsForWavesPerEU: 18
; NumVGPRsForWavesPerEU: 66
; Occupancy: 16
; WaveLimiterHint : 1
; COMPUTE_PGM_RSRC2:SCRATCH_EN: 0
; COMPUTE_PGM_RSRC2:USER_SGPR: 15
; COMPUTE_PGM_RSRC2:TRAP_HANDLER: 0
; COMPUTE_PGM_RSRC2:TGID_X_EN: 1
; COMPUTE_PGM_RSRC2:TGID_Y_EN: 0
; COMPUTE_PGM_RSRC2:TGID_Z_EN: 0
; COMPUTE_PGM_RSRC2:TIDIG_COMP_CNT: 0
	.section	.text._Z6kernelI14subtract_rightLj256ELj1ELb0EJPaS1_jEEvDpT3_,"axG",@progbits,_Z6kernelI14subtract_rightLj256ELj1ELb0EJPaS1_jEEvDpT3_,comdat
	.protected	_Z6kernelI14subtract_rightLj256ELj1ELb0EJPaS1_jEEvDpT3_ ; -- Begin function _Z6kernelI14subtract_rightLj256ELj1ELb0EJPaS1_jEEvDpT3_
	.globl	_Z6kernelI14subtract_rightLj256ELj1ELb0EJPaS1_jEEvDpT3_
	.p2align	8
	.type	_Z6kernelI14subtract_rightLj256ELj1ELb0EJPaS1_jEEvDpT3_,@function
_Z6kernelI14subtract_rightLj256ELj1ELb0EJPaS1_jEEvDpT3_: ; @_Z6kernelI14subtract_rightLj256ELj1ELb0EJPaS1_jEEvDpT3_
; %bb.0:
	s_load_b128 s[4:7], s[0:1], 0x0
	s_lshl_b32 s2, s15, 8
	s_load_b32 s0, s[0:1], 0x10
	s_waitcnt lgkmcnt(0)
	s_add_u32 s4, s4, s2
	s_addc_u32 s5, s5, 0
	s_cmp_eq_u32 s0, 0
	global_load_u8 v1, v0, s[4:5]
	s_cbranch_scc1 .LBB72_5
; %bb.1:
	v_cmp_ne_u32_e32 vcc_lo, 0xff, v0
	s_branch .LBB72_3
	.p2align	6
.LBB72_2:                               ;   in Loop: Header=BB72_3 Depth=1
	s_or_b32 exec_lo, exec_lo, s1
	s_delay_alu instid0(VALU_DEP_1) | instskip(SKIP_1) | instid1(SALU_CYCLE_1)
	v_add_nc_u16 v1, v2, v1
	s_add_i32 s0, s0, -1
	s_cmp_lg_u32 s0, 0
	s_barrier
	buffer_gl0_inv
	s_cbranch_scc0 .LBB72_5
.LBB72_3:                               ; =>This Inner Loop Header: Depth=1
	s_waitcnt vmcnt(0)
	v_mov_b32_e32 v2, v1
	ds_store_b8 v0, v1 offset:256
	s_waitcnt lgkmcnt(0)
	s_barrier
	buffer_gl0_inv
	s_and_saveexec_b32 s1, vcc_lo
	s_cbranch_execz .LBB72_2
; %bb.4:                                ;   in Loop: Header=BB72_3 Depth=1
	ds_load_u8 v2, v0 offset:257
	s_waitcnt lgkmcnt(0)
	v_sub_nc_u16 v2, v1, v2
	s_branch .LBB72_2
.LBB72_5:
	s_add_u32 s0, s6, s2
	s_addc_u32 s1, s7, 0
	v_add_co_u32 v2, s0, s0, v0
	s_delay_alu instid0(VALU_DEP_1)
	v_add_co_ci_u32_e64 v3, null, s1, 0, s0
	s_waitcnt vmcnt(0)
	global_store_b8 v[2:3], v1, off
	s_nop 0
	s_sendmsg sendmsg(MSG_DEALLOC_VGPRS)
	s_endpgm
	.section	.rodata,"a",@progbits
	.p2align	6, 0x0
	.amdhsa_kernel _Z6kernelI14subtract_rightLj256ELj1ELb0EJPaS1_jEEvDpT3_
		.amdhsa_group_segment_fixed_size 512
		.amdhsa_private_segment_fixed_size 0
		.amdhsa_kernarg_size 20
		.amdhsa_user_sgpr_count 15
		.amdhsa_user_sgpr_dispatch_ptr 0
		.amdhsa_user_sgpr_queue_ptr 0
		.amdhsa_user_sgpr_kernarg_segment_ptr 1
		.amdhsa_user_sgpr_dispatch_id 0
		.amdhsa_user_sgpr_private_segment_size 0
		.amdhsa_wavefront_size32 1
		.amdhsa_uses_dynamic_stack 0
		.amdhsa_enable_private_segment 0
		.amdhsa_system_sgpr_workgroup_id_x 1
		.amdhsa_system_sgpr_workgroup_id_y 0
		.amdhsa_system_sgpr_workgroup_id_z 0
		.amdhsa_system_sgpr_workgroup_info 0
		.amdhsa_system_vgpr_workitem_id 0
		.amdhsa_next_free_vgpr 4
		.amdhsa_next_free_sgpr 16
		.amdhsa_reserve_vcc 1
		.amdhsa_float_round_mode_32 0
		.amdhsa_float_round_mode_16_64 0
		.amdhsa_float_denorm_mode_32 3
		.amdhsa_float_denorm_mode_16_64 3
		.amdhsa_dx10_clamp 1
		.amdhsa_ieee_mode 1
		.amdhsa_fp16_overflow 0
		.amdhsa_workgroup_processor_mode 1
		.amdhsa_memory_ordered 1
		.amdhsa_forward_progress 0
		.amdhsa_shared_vgpr_count 0
		.amdhsa_exception_fp_ieee_invalid_op 0
		.amdhsa_exception_fp_denorm_src 0
		.amdhsa_exception_fp_ieee_div_zero 0
		.amdhsa_exception_fp_ieee_overflow 0
		.amdhsa_exception_fp_ieee_underflow 0
		.amdhsa_exception_fp_ieee_inexact 0
		.amdhsa_exception_int_div_zero 0
	.end_amdhsa_kernel
	.section	.text._Z6kernelI14subtract_rightLj256ELj1ELb0EJPaS1_jEEvDpT3_,"axG",@progbits,_Z6kernelI14subtract_rightLj256ELj1ELb0EJPaS1_jEEvDpT3_,comdat
.Lfunc_end72:
	.size	_Z6kernelI14subtract_rightLj256ELj1ELb0EJPaS1_jEEvDpT3_, .Lfunc_end72-_Z6kernelI14subtract_rightLj256ELj1ELb0EJPaS1_jEEvDpT3_
                                        ; -- End function
	.section	.AMDGPU.csdata,"",@progbits
; Kernel info:
; codeLenInByte = 216
; NumSgprs: 18
; NumVgprs: 4
; ScratchSize: 0
; MemoryBound: 0
; FloatMode: 240
; IeeeMode: 1
; LDSByteSize: 512 bytes/workgroup (compile time only)
; SGPRBlocks: 2
; VGPRBlocks: 0
; NumSGPRsForWavesPerEU: 18
; NumVGPRsForWavesPerEU: 4
; Occupancy: 16
; WaveLimiterHint : 0
; COMPUTE_PGM_RSRC2:SCRATCH_EN: 0
; COMPUTE_PGM_RSRC2:USER_SGPR: 15
; COMPUTE_PGM_RSRC2:TRAP_HANDLER: 0
; COMPUTE_PGM_RSRC2:TGID_X_EN: 1
; COMPUTE_PGM_RSRC2:TGID_Y_EN: 0
; COMPUTE_PGM_RSRC2:TGID_Z_EN: 0
; COMPUTE_PGM_RSRC2:TIDIG_COMP_CNT: 0
	.section	.text._Z6kernelI14subtract_rightLj256ELj3ELb0EJPaS1_jEEvDpT3_,"axG",@progbits,_Z6kernelI14subtract_rightLj256ELj3ELb0EJPaS1_jEEvDpT3_,comdat
	.protected	_Z6kernelI14subtract_rightLj256ELj3ELb0EJPaS1_jEEvDpT3_ ; -- Begin function _Z6kernelI14subtract_rightLj256ELj3ELb0EJPaS1_jEEvDpT3_
	.globl	_Z6kernelI14subtract_rightLj256ELj3ELb0EJPaS1_jEEvDpT3_
	.p2align	8
	.type	_Z6kernelI14subtract_rightLj256ELj3ELb0EJPaS1_jEEvDpT3_,@function
_Z6kernelI14subtract_rightLj256ELj3ELb0EJPaS1_jEEvDpT3_: ; @_Z6kernelI14subtract_rightLj256ELj3ELb0EJPaS1_jEEvDpT3_
; %bb.0:
	s_load_b128 s[4:7], s[0:1], 0x0
	s_mul_i32 s2, s15, 0x300
	s_load_b32 s0, s[0:1], 0x10
	s_waitcnt lgkmcnt(0)
	s_add_u32 s4, s4, s2
	s_addc_u32 s5, s5, 0
	s_cmp_eq_u32 s0, 0
	s_clause 0x2
	global_load_u8 v1, v0, s[4:5] offset:256
	global_load_u8 v2, v0, s[4:5]
	global_load_u8 v3, v0, s[4:5] offset:512
	s_waitcnt vmcnt(2)
	v_lshlrev_b16 v1, 8, v1
	s_waitcnt vmcnt(1)
	s_delay_alu instid0(VALU_DEP_1) | instskip(NEXT) | instid1(VALU_DEP_1)
	v_or_b32_e32 v1, v2, v1
	v_and_b32_e32 v1, 0xffff, v1
	s_waitcnt vmcnt(0)
	s_delay_alu instid0(VALU_DEP_1)
	v_lshl_or_b32 v1, v3, 16, v1
	s_cbranch_scc1 .LBB73_5
; %bb.1:
	v_cmp_ne_u32_e32 vcc_lo, 0xff, v0
	s_branch .LBB73_3
.LBB73_2:                               ;   in Loop: Header=BB73_3 Depth=1
	s_or_b32 exec_lo, exec_lo, s1
	s_delay_alu instid0(VALU_DEP_1) | instskip(SKIP_3) | instid1(VALU_DEP_3)
	v_lshrrev_b32_e32 v5, 8, v4
	v_lshrrev_b32_e32 v6, 16, v4
	v_add_nc_u16 v1, v4, v1
	s_add_i32 s0, s0, -1
	v_add_nc_u16 v3, v5, v3
	s_delay_alu instid0(VALU_DEP_3) | instskip(NEXT) | instid1(VALU_DEP_3)
	v_add_nc_u16 v2, v6, v2
	v_and_b32_e32 v1, 0xff, v1
	s_cmp_lg_u32 s0, 0
	s_barrier
	v_lshlrev_b16 v3, 8, v3
	v_and_b32_e32 v2, 0xff, v2
	buffer_gl0_inv
	v_or_b32_e32 v1, v1, v3
	v_lshlrev_b32_e32 v2, 16, v2
	s_delay_alu instid0(VALU_DEP_2) | instskip(NEXT) | instid1(VALU_DEP_1)
	v_and_b32_e32 v1, 0xffff, v1
	v_or_b32_e32 v1, v1, v2
	s_cbranch_scc0 .LBB73_5
.LBB73_3:                               ; =>This Inner Loop Header: Depth=1
	s_delay_alu instid0(VALU_DEP_1)
	v_lshrrev_b32_e32 v2, 16, v1
	v_lshrrev_b32_e32 v3, 8, v1
	ds_store_b8 v0, v1 offset:256
	s_waitcnt lgkmcnt(0)
	s_barrier
	buffer_gl0_inv
	v_sub_nc_u16 v4, v3, v2
	v_sub_nc_u16 v5, v1, v3
	s_delay_alu instid0(VALU_DEP_2) | instskip(NEXT) | instid1(VALU_DEP_2)
	v_lshlrev_b16 v4, 8, v4
	v_and_b32_e32 v5, 0xff, v5
	s_delay_alu instid0(VALU_DEP_2) | instskip(NEXT) | instid1(VALU_DEP_1)
	v_lshrrev_b32_e32 v4, 8, v4
	v_lshlrev_b16 v4, 8, v4
	s_delay_alu instid0(VALU_DEP_1) | instskip(NEXT) | instid1(VALU_DEP_1)
	v_or_b32_e32 v4, v5, v4
	v_and_b32_e32 v4, 0xffff, v4
	s_delay_alu instid0(VALU_DEP_1)
	v_and_or_b32 v4, 0xff0000, v1, v4
	s_and_saveexec_b32 s1, vcc_lo
	s_cbranch_execz .LBB73_2
; %bb.4:                                ;   in Loop: Header=BB73_3 Depth=1
	ds_load_u8 v5, v0 offset:257
	v_lshrrev_b32_e32 v6, 8, v4
	v_and_b32_e32 v4, 0xff, v4
	s_delay_alu instid0(VALU_DEP_2) | instskip(NEXT) | instid1(VALU_DEP_1)
	v_lshlrev_b16 v6, 8, v6
	v_or_b32_e32 v4, v4, v6
	s_delay_alu instid0(VALU_DEP_1) | instskip(SKIP_2) | instid1(VALU_DEP_1)
	v_and_b32_e32 v4, 0xffff, v4
	s_waitcnt lgkmcnt(0)
	v_sub_nc_u16 v5, v2, v5
	v_and_b32_e32 v5, 0xff, v5
	s_delay_alu instid0(VALU_DEP_1) | instskip(NEXT) | instid1(VALU_DEP_1)
	v_lshlrev_b32_e32 v5, 16, v5
	v_or_b32_e32 v4, v4, v5
	s_branch .LBB73_2
.LBB73_5:
	s_add_u32 s0, s6, s2
	s_addc_u32 s1, s7, 0
	v_add_co_u32 v2, s0, s0, v0
	s_delay_alu instid0(VALU_DEP_1)
	v_add_co_ci_u32_e64 v3, null, s1, 0, s0
	v_lshrrev_b32_e32 v0, 8, v1
	s_clause 0x2
	global_store_b8 v[2:3], v1, off
	global_store_b8 v[2:3], v0, off offset:256
	global_store_d16_hi_b8 v[2:3], v1, off offset:512
	s_nop 0
	s_sendmsg sendmsg(MSG_DEALLOC_VGPRS)
	s_endpgm
	.section	.rodata,"a",@progbits
	.p2align	6, 0x0
	.amdhsa_kernel _Z6kernelI14subtract_rightLj256ELj3ELb0EJPaS1_jEEvDpT3_
		.amdhsa_group_segment_fixed_size 512
		.amdhsa_private_segment_fixed_size 0
		.amdhsa_kernarg_size 20
		.amdhsa_user_sgpr_count 15
		.amdhsa_user_sgpr_dispatch_ptr 0
		.amdhsa_user_sgpr_queue_ptr 0
		.amdhsa_user_sgpr_kernarg_segment_ptr 1
		.amdhsa_user_sgpr_dispatch_id 0
		.amdhsa_user_sgpr_private_segment_size 0
		.amdhsa_wavefront_size32 1
		.amdhsa_uses_dynamic_stack 0
		.amdhsa_enable_private_segment 0
		.amdhsa_system_sgpr_workgroup_id_x 1
		.amdhsa_system_sgpr_workgroup_id_y 0
		.amdhsa_system_sgpr_workgroup_id_z 0
		.amdhsa_system_sgpr_workgroup_info 0
		.amdhsa_system_vgpr_workitem_id 0
		.amdhsa_next_free_vgpr 7
		.amdhsa_next_free_sgpr 16
		.amdhsa_reserve_vcc 1
		.amdhsa_float_round_mode_32 0
		.amdhsa_float_round_mode_16_64 0
		.amdhsa_float_denorm_mode_32 3
		.amdhsa_float_denorm_mode_16_64 3
		.amdhsa_dx10_clamp 1
		.amdhsa_ieee_mode 1
		.amdhsa_fp16_overflow 0
		.amdhsa_workgroup_processor_mode 1
		.amdhsa_memory_ordered 1
		.amdhsa_forward_progress 0
		.amdhsa_shared_vgpr_count 0
		.amdhsa_exception_fp_ieee_invalid_op 0
		.amdhsa_exception_fp_denorm_src 0
		.amdhsa_exception_fp_ieee_div_zero 0
		.amdhsa_exception_fp_ieee_overflow 0
		.amdhsa_exception_fp_ieee_underflow 0
		.amdhsa_exception_fp_ieee_inexact 0
		.amdhsa_exception_int_div_zero 0
	.end_amdhsa_kernel
	.section	.text._Z6kernelI14subtract_rightLj256ELj3ELb0EJPaS1_jEEvDpT3_,"axG",@progbits,_Z6kernelI14subtract_rightLj256ELj3ELb0EJPaS1_jEEvDpT3_,comdat
.Lfunc_end73:
	.size	_Z6kernelI14subtract_rightLj256ELj3ELb0EJPaS1_jEEvDpT3_, .Lfunc_end73-_Z6kernelI14subtract_rightLj256ELj3ELb0EJPaS1_jEEvDpT3_
                                        ; -- End function
	.section	.AMDGPU.csdata,"",@progbits
; Kernel info:
; codeLenInByte = 532
; NumSgprs: 18
; NumVgprs: 7
; ScratchSize: 0
; MemoryBound: 0
; FloatMode: 240
; IeeeMode: 1
; LDSByteSize: 512 bytes/workgroup (compile time only)
; SGPRBlocks: 2
; VGPRBlocks: 0
; NumSGPRsForWavesPerEU: 18
; NumVGPRsForWavesPerEU: 7
; Occupancy: 16
; WaveLimiterHint : 1
; COMPUTE_PGM_RSRC2:SCRATCH_EN: 0
; COMPUTE_PGM_RSRC2:USER_SGPR: 15
; COMPUTE_PGM_RSRC2:TRAP_HANDLER: 0
; COMPUTE_PGM_RSRC2:TGID_X_EN: 1
; COMPUTE_PGM_RSRC2:TGID_Y_EN: 0
; COMPUTE_PGM_RSRC2:TGID_Z_EN: 0
; COMPUTE_PGM_RSRC2:TIDIG_COMP_CNT: 0
	.section	.text._Z6kernelI14subtract_rightLj256ELj4ELb0EJPaS1_jEEvDpT3_,"axG",@progbits,_Z6kernelI14subtract_rightLj256ELj4ELb0EJPaS1_jEEvDpT3_,comdat
	.protected	_Z6kernelI14subtract_rightLj256ELj4ELb0EJPaS1_jEEvDpT3_ ; -- Begin function _Z6kernelI14subtract_rightLj256ELj4ELb0EJPaS1_jEEvDpT3_
	.globl	_Z6kernelI14subtract_rightLj256ELj4ELb0EJPaS1_jEEvDpT3_
	.p2align	8
	.type	_Z6kernelI14subtract_rightLj256ELj4ELb0EJPaS1_jEEvDpT3_,@function
_Z6kernelI14subtract_rightLj256ELj4ELb0EJPaS1_jEEvDpT3_: ; @_Z6kernelI14subtract_rightLj256ELj4ELb0EJPaS1_jEEvDpT3_
; %bb.0:
	s_load_b128 s[4:7], s[0:1], 0x0
	s_lshl_b32 s2, s15, 10
	s_load_b32 s0, s[0:1], 0x10
	s_waitcnt lgkmcnt(0)
	s_add_u32 s4, s4, s2
	s_addc_u32 s5, s5, 0
	s_cmp_eq_u32 s0, 0
	s_clause 0x3
	global_load_u8 v1, v0, s[4:5] offset:256
	global_load_u8 v2, v0, s[4:5] offset:768
	global_load_u8 v3, v0, s[4:5]
	global_load_u8 v4, v0, s[4:5] offset:512
	s_waitcnt vmcnt(3)
	v_lshlrev_b16 v1, 8, v1
	s_waitcnt vmcnt(2)
	v_lshlrev_b16 v2, 8, v2
	s_waitcnt vmcnt(1)
	s_delay_alu instid0(VALU_DEP_2) | instskip(SKIP_1) | instid1(VALU_DEP_2)
	v_or_b32_e32 v1, v3, v1
	s_waitcnt vmcnt(0)
	v_or_b32_e32 v2, v4, v2
	s_delay_alu instid0(VALU_DEP_2) | instskip(NEXT) | instid1(VALU_DEP_2)
	v_and_b32_e32 v1, 0xffff, v1
	v_lshlrev_b32_e32 v2, 16, v2
	s_delay_alu instid0(VALU_DEP_1)
	v_or_b32_e32 v1, v1, v2
	s_cbranch_scc1 .LBB74_5
; %bb.1:
	v_cmp_ne_u32_e32 vcc_lo, 0xff, v0
	s_branch .LBB74_3
.LBB74_2:                               ;   in Loop: Header=BB74_3 Depth=1
	s_or_b32 exec_lo, exec_lo, s1
	s_delay_alu instid0(VALU_DEP_1)
	v_lshrrev_b32_e32 v6, 8, v5
	v_lshrrev_b32_e32 v7, 24, v5
	;; [unrolled: 1-line block ×3, first 2 shown]
	v_add_nc_u16 v1, v5, v1
	s_add_i32 s0, s0, -1
	v_add_nc_u16 v4, v6, v4
	v_add_nc_u16 v3, v7, v3
	;; [unrolled: 1-line block ×3, first 2 shown]
	v_and_b32_e32 v1, 0xff, v1
	s_cmp_lg_u32 s0, 0
	v_lshlrev_b16 v4, 8, v4
	v_lshlrev_b16 v3, 8, v3
	v_and_b32_e32 v2, 0xff, v2
	s_barrier
	s_delay_alu instid0(VALU_DEP_3) | instskip(SKIP_3) | instid1(VALU_DEP_2)
	v_or_b32_e32 v1, v1, v4
	buffer_gl0_inv
	v_or_b32_e32 v2, v2, v3
	v_and_b32_e32 v1, 0xffff, v1
	v_lshlrev_b32_e32 v2, 16, v2
	s_delay_alu instid0(VALU_DEP_1)
	v_or_b32_e32 v1, v1, v2
	s_cbranch_scc0 .LBB74_5
.LBB74_3:                               ; =>This Inner Loop Header: Depth=1
	s_delay_alu instid0(VALU_DEP_1)
	v_lshrrev_b32_e32 v2, 16, v1
	v_lshrrev_b32_e32 v4, 8, v1
	;; [unrolled: 1-line block ×3, first 2 shown]
	ds_store_b8 v0, v1 offset:256
	s_waitcnt lgkmcnt(0)
	v_and_b32_e32 v8, 0xffffff00, v2
	v_sub_nc_u16 v5, v4, v2
	v_sub_nc_u16 v6, v1, v4
	v_sub_nc_u16 v7, v2, v3
	s_barrier
	buffer_gl0_inv
	v_lshlrev_b16 v5, 8, v5
	v_and_b32_e32 v6, 0xff, v6
	v_and_b32_e32 v7, 0xff, v7
	s_delay_alu instid0(VALU_DEP_2) | instskip(NEXT) | instid1(VALU_DEP_2)
	v_or_b32_e32 v5, v6, v5
	v_or_b32_e32 v6, v7, v8
	s_delay_alu instid0(VALU_DEP_2) | instskip(NEXT) | instid1(VALU_DEP_2)
	v_and_b32_e32 v5, 0xffff, v5
	v_lshlrev_b32_e32 v6, 16, v6
	s_delay_alu instid0(VALU_DEP_1)
	v_or_b32_e32 v5, v5, v6
	s_and_saveexec_b32 s1, vcc_lo
	s_cbranch_execz .LBB74_2
; %bb.4:                                ;   in Loop: Header=BB74_3 Depth=1
	ds_load_u8 v6, v0 offset:257
	v_lshrrev_b32_e32 v7, 16, v5
	s_delay_alu instid0(VALU_DEP_1) | instskip(SKIP_2) | instid1(VALU_DEP_1)
	v_and_b32_e32 v7, 0xff, v7
	s_waitcnt lgkmcnt(0)
	v_sub_nc_u16 v6, v3, v6
	v_lshlrev_b16 v6, 8, v6
	s_delay_alu instid0(VALU_DEP_1) | instskip(NEXT) | instid1(VALU_DEP_1)
	v_or_b32_e32 v6, v7, v6
	v_lshlrev_b32_e32 v6, 16, v6
	s_delay_alu instid0(VALU_DEP_1)
	v_and_or_b32 v5, 0xffff, v5, v6
	s_branch .LBB74_2
.LBB74_5:
	s_add_u32 s0, s6, s2
	s_addc_u32 s1, s7, 0
	v_add_co_u32 v2, s0, s0, v0
	s_delay_alu instid0(VALU_DEP_1)
	v_add_co_ci_u32_e64 v3, null, s1, 0, s0
	v_lshrrev_b32_e32 v0, 8, v1
	v_lshrrev_b32_e32 v4, 24, v1
	s_clause 0x3
	global_store_b8 v[2:3], v1, off
	global_store_b8 v[2:3], v0, off offset:256
	global_store_d16_hi_b8 v[2:3], v1, off offset:512
	global_store_b8 v[2:3], v4, off offset:768
	s_nop 0
	s_sendmsg sendmsg(MSG_DEALLOC_VGPRS)
	s_endpgm
	.section	.rodata,"a",@progbits
	.p2align	6, 0x0
	.amdhsa_kernel _Z6kernelI14subtract_rightLj256ELj4ELb0EJPaS1_jEEvDpT3_
		.amdhsa_group_segment_fixed_size 512
		.amdhsa_private_segment_fixed_size 0
		.amdhsa_kernarg_size 20
		.amdhsa_user_sgpr_count 15
		.amdhsa_user_sgpr_dispatch_ptr 0
		.amdhsa_user_sgpr_queue_ptr 0
		.amdhsa_user_sgpr_kernarg_segment_ptr 1
		.amdhsa_user_sgpr_dispatch_id 0
		.amdhsa_user_sgpr_private_segment_size 0
		.amdhsa_wavefront_size32 1
		.amdhsa_uses_dynamic_stack 0
		.amdhsa_enable_private_segment 0
		.amdhsa_system_sgpr_workgroup_id_x 1
		.amdhsa_system_sgpr_workgroup_id_y 0
		.amdhsa_system_sgpr_workgroup_id_z 0
		.amdhsa_system_sgpr_workgroup_info 0
		.amdhsa_system_vgpr_workitem_id 0
		.amdhsa_next_free_vgpr 9
		.amdhsa_next_free_sgpr 16
		.amdhsa_reserve_vcc 1
		.amdhsa_float_round_mode_32 0
		.amdhsa_float_round_mode_16_64 0
		.amdhsa_float_denorm_mode_32 3
		.amdhsa_float_denorm_mode_16_64 3
		.amdhsa_dx10_clamp 1
		.amdhsa_ieee_mode 1
		.amdhsa_fp16_overflow 0
		.amdhsa_workgroup_processor_mode 1
		.amdhsa_memory_ordered 1
		.amdhsa_forward_progress 0
		.amdhsa_shared_vgpr_count 0
		.amdhsa_exception_fp_ieee_invalid_op 0
		.amdhsa_exception_fp_denorm_src 0
		.amdhsa_exception_fp_ieee_div_zero 0
		.amdhsa_exception_fp_ieee_overflow 0
		.amdhsa_exception_fp_ieee_underflow 0
		.amdhsa_exception_fp_ieee_inexact 0
		.amdhsa_exception_int_div_zero 0
	.end_amdhsa_kernel
	.section	.text._Z6kernelI14subtract_rightLj256ELj4ELb0EJPaS1_jEEvDpT3_,"axG",@progbits,_Z6kernelI14subtract_rightLj256ELj4ELb0EJPaS1_jEEvDpT3_,comdat
.Lfunc_end74:
	.size	_Z6kernelI14subtract_rightLj256ELj4ELb0EJPaS1_jEEvDpT3_, .Lfunc_end74-_Z6kernelI14subtract_rightLj256ELj4ELb0EJPaS1_jEEvDpT3_
                                        ; -- End function
	.section	.AMDGPU.csdata,"",@progbits
; Kernel info:
; codeLenInByte = 596
; NumSgprs: 18
; NumVgprs: 9
; ScratchSize: 0
; MemoryBound: 0
; FloatMode: 240
; IeeeMode: 1
; LDSByteSize: 512 bytes/workgroup (compile time only)
; SGPRBlocks: 2
; VGPRBlocks: 1
; NumSGPRsForWavesPerEU: 18
; NumVGPRsForWavesPerEU: 9
; Occupancy: 16
; WaveLimiterHint : 1
; COMPUTE_PGM_RSRC2:SCRATCH_EN: 0
; COMPUTE_PGM_RSRC2:USER_SGPR: 15
; COMPUTE_PGM_RSRC2:TRAP_HANDLER: 0
; COMPUTE_PGM_RSRC2:TGID_X_EN: 1
; COMPUTE_PGM_RSRC2:TGID_Y_EN: 0
; COMPUTE_PGM_RSRC2:TGID_Z_EN: 0
; COMPUTE_PGM_RSRC2:TIDIG_COMP_CNT: 0
	.section	.text._Z6kernelI14subtract_rightLj256ELj8ELb0EJPaS1_jEEvDpT3_,"axG",@progbits,_Z6kernelI14subtract_rightLj256ELj8ELb0EJPaS1_jEEvDpT3_,comdat
	.protected	_Z6kernelI14subtract_rightLj256ELj8ELb0EJPaS1_jEEvDpT3_ ; -- Begin function _Z6kernelI14subtract_rightLj256ELj8ELb0EJPaS1_jEEvDpT3_
	.globl	_Z6kernelI14subtract_rightLj256ELj8ELb0EJPaS1_jEEvDpT3_
	.p2align	8
	.type	_Z6kernelI14subtract_rightLj256ELj8ELb0EJPaS1_jEEvDpT3_,@function
_Z6kernelI14subtract_rightLj256ELj8ELb0EJPaS1_jEEvDpT3_: ; @_Z6kernelI14subtract_rightLj256ELj8ELb0EJPaS1_jEEvDpT3_
; %bb.0:
	s_load_b128 s[4:7], s[0:1], 0x0
	s_lshl_b32 s2, s15, 11
	s_load_b32 s0, s[0:1], 0x10
	s_waitcnt lgkmcnt(0)
	s_add_u32 s4, s4, s2
	s_addc_u32 s5, s5, 0
	s_cmp_eq_u32 s0, 0
	s_clause 0x7
	global_load_u8 v1, v0, s[4:5] offset:256
	global_load_u8 v2, v0, s[4:5] offset:768
	global_load_u8 v3, v0, s[4:5] offset:1280
	global_load_u8 v4, v0, s[4:5] offset:1792
	global_load_u8 v5, v0, s[4:5]
	global_load_u8 v6, v0, s[4:5] offset:512
	global_load_u8 v7, v0, s[4:5] offset:1024
	;; [unrolled: 1-line block ×3, first 2 shown]
	s_waitcnt vmcnt(7)
	v_lshlrev_b16 v1, 8, v1
	s_waitcnt vmcnt(6)
	v_lshlrev_b16 v2, 8, v2
	;; [unrolled: 2-line block ×4, first 2 shown]
	s_waitcnt vmcnt(3)
	v_or_b32_e32 v1, v5, v1
	s_waitcnt vmcnt(2)
	v_or_b32_e32 v2, v6, v2
	;; [unrolled: 2-line block ×4, first 2 shown]
	v_and_b32_e32 v1, 0xffff, v1
	v_lshlrev_b32_e32 v2, 16, v2
	v_and_b32_e32 v3, 0xffff, v3
	s_delay_alu instid0(VALU_DEP_4) | instskip(NEXT) | instid1(VALU_DEP_3)
	v_lshlrev_b32_e32 v4, 16, v4
	v_or_b32_e32 v1, v1, v2
	s_delay_alu instid0(VALU_DEP_2)
	v_or_b32_e32 v2, v3, v4
	s_cbranch_scc1 .LBB75_5
; %bb.1:
	v_cmp_ne_u32_e32 vcc_lo, 0xff, v0
	s_branch .LBB75_3
.LBB75_2:                               ;   in Loop: Header=BB75_3 Depth=1
	s_or_b32 exec_lo, exec_lo, s1
	s_delay_alu instid0(VALU_DEP_1)
	v_lshrrev_b32_e32 v4, 24, v13
	v_lshrrev_b32_e32 v10, 16, v13
	;; [unrolled: 1-line block ×6, first 2 shown]
	v_add_nc_u16 v1, v14, v1
	v_add_nc_u16 v8, v11, v8
	;; [unrolled: 1-line block ×8, first 2 shown]
	v_and_b32_e32 v1, 0xff, v1
	v_lshlrev_b16 v6, 8, v8
	v_lshlrev_b16 v3, 8, v3
	v_and_b32_e32 v8, 0xff, v9
	v_and_b32_e32 v2, 0xff, v2
	v_lshlrev_b16 v7, 8, v7
	v_lshlrev_b16 v4, 8, v4
	v_and_b32_e32 v5, 0xff, v5
	v_or_b32_e32 v1, v1, v6
	v_or_b32_e32 v3, v8, v3
	;; [unrolled: 1-line block ×3, first 2 shown]
	s_add_i32 s0, s0, -1
	v_or_b32_e32 v4, v5, v4
	v_and_b32_e32 v1, 0xffff, v1
	v_lshlrev_b32_e32 v3, 16, v3
	v_and_b32_e32 v2, 0xffff, v2
	s_cmp_lg_u32 s0, 0
	v_lshlrev_b32_e32 v4, 16, v4
	s_delay_alu instid0(VALU_DEP_3)
	v_or_b32_e32 v1, v1, v3
	s_barrier
	buffer_gl0_inv
	v_or_b32_e32 v2, v2, v4
	s_cbranch_scc0 .LBB75_5
.LBB75_3:                               ; =>This Inner Loop Header: Depth=1
	v_lshrrev_b32_e32 v8, 8, v1
	v_lshrrev_b32_e32 v9, 16, v1
	s_delay_alu instid0(VALU_DEP_3)
	v_lshrrev_b32_e32 v5, 16, v2
	v_lshrrev_b32_e32 v7, 8, v2
	v_lshrrev_b64 v[3:4], 24, v[1:2]
	v_sub_nc_u16 v11, v1, v8
	v_sub_nc_u16 v10, v8, v9
	v_lshrrev_b32_e32 v6, 24, v2
	v_sub_nc_u16 v4, v2, v7
	v_sub_nc_u16 v12, v7, v5
	v_and_b32_e32 v11, 0xff, v11
	v_lshlrev_b16 v10, 8, v10
	v_sub_nc_u16 v14, v5, v6
	v_and_b32_e32 v4, 0xff, v4
	v_lshlrev_b16 v12, 8, v12
	v_and_b32_e32 v13, 0xffffff00, v5
	v_or_b32_e32 v15, v11, v10
	v_sub_nc_u16 v10, v9, v3
	v_sub_nc_u16 v11, v3, v2
	v_or_b32_e32 v16, v4, v12
	v_and_b32_e32 v14, 0xff, v14
	v_and_b32_e32 v4, 0xffff, v15
	;; [unrolled: 1-line block ×3, first 2 shown]
	v_lshlrev_b16 v17, 8, v11
	v_and_b32_e32 v11, 0xffff, v16
	v_or_b32_e32 v12, v14, v13
	v_lshrrev_b32_e32 v13, 8, v4
	v_and_b32_e32 v15, 0xff, v15
	v_or_b32_e32 v10, v10, v17
	v_lshrrev_b32_e32 v14, 8, v17
	v_lshrrev_b32_e32 v17, 8, v11
	v_lshlrev_b16 v13, 8, v13
	v_and_b32_e32 v16, 0xff, v16
	v_and_b32_e32 v18, 0xff, v10
	v_lshlrev_b16 v14, 8, v14
	v_lshlrev_b16 v17, 8, v17
	v_and_b32_e32 v19, 0xff, v12
	v_lshlrev_b16 v20, 8, v6
	v_or_b32_e32 v13, v15, v13
	v_or_b32_e32 v14, v18, v14
	;; [unrolled: 1-line block ×3, first 2 shown]
	ds_store_b8 v0, v1 offset:256
	v_or_b32_e32 v16, v19, v20
	v_and_b32_e32 v13, 0xffff, v13
	v_lshlrev_b32_e32 v14, 16, v14
	v_and_b32_e32 v15, 0xffff, v15
	s_waitcnt lgkmcnt(0)
	v_lshlrev_b32_e32 v16, 16, v16
	s_barrier
	v_or_b32_e32 v14, v13, v14
	buffer_gl0_inv
	v_or_b32_e32 v13, v15, v16
	s_and_saveexec_b32 s1, vcc_lo
	s_cbranch_execz .LBB75_2
; %bb.4:                                ;   in Loop: Header=BB75_3 Depth=1
	ds_load_u8 v13, v0 offset:257
	v_lshlrev_b32_e32 v12, 16, v12
	v_lshlrev_b32_e32 v10, 16, v10
	s_delay_alu instid0(VALU_DEP_2) | instskip(NEXT) | instid1(VALU_DEP_2)
	v_or_b32_e32 v11, v11, v12
	v_or_b32_e32 v4, v4, v10
	s_delay_alu instid0(VALU_DEP_2) | instskip(SKIP_2) | instid1(VALU_DEP_3)
	v_lshrrev_b32_e32 v12, 8, v11
	v_lshrrev_b32_e32 v14, 16, v11
	v_and_b32_e32 v11, 0xff, v11
	v_lshlrev_b16 v12, 8, v12
	s_delay_alu instid0(VALU_DEP_3) | instskip(SKIP_2) | instid1(VALU_DEP_3)
	v_and_b32_e32 v14, 0xff, v14
	s_waitcnt lgkmcnt(0)
	v_sub_nc_u16 v13, v6, v13
	v_or_b32_e32 v11, v11, v12
	s_delay_alu instid0(VALU_DEP_2) | instskip(NEXT) | instid1(VALU_DEP_2)
	v_lshlrev_b16 v13, 8, v13
	v_and_b32_e32 v10, 0xffff, v11
	s_delay_alu instid0(VALU_DEP_2) | instskip(SKIP_1) | instid1(VALU_DEP_2)
	v_or_b32_e32 v12, v14, v13
	v_perm_b32 v14, v4, v4, 0x3020104
	v_lshlrev_b32_e32 v11, 16, v12
	s_delay_alu instid0(VALU_DEP_1)
	v_or_b32_e32 v13, v10, v11
	s_branch .LBB75_2
.LBB75_5:
	s_add_u32 s0, s6, s2
	s_addc_u32 s1, s7, 0
	v_add_co_u32 v3, s0, s0, v0
	s_delay_alu instid0(VALU_DEP_1)
	v_add_co_ci_u32_e64 v4, null, s1, 0, s0
	v_lshrrev_b32_e32 v0, 8, v1
	v_lshrrev_b32_e32 v5, 24, v1
	;; [unrolled: 1-line block ×4, first 2 shown]
	s_clause 0x7
	global_store_b8 v[3:4], v1, off
	global_store_b8 v[3:4], v0, off offset:256
	global_store_d16_hi_b8 v[3:4], v1, off offset:512
	global_store_b8 v[3:4], v5, off offset:768
	global_store_b8 v[3:4], v2, off offset:1024
	;; [unrolled: 1-line block ×3, first 2 shown]
	global_store_d16_hi_b8 v[3:4], v2, off offset:1536
	global_store_b8 v[3:4], v7, off offset:1792
	s_nop 0
	s_sendmsg sendmsg(MSG_DEALLOC_VGPRS)
	s_endpgm
	.section	.rodata,"a",@progbits
	.p2align	6, 0x0
	.amdhsa_kernel _Z6kernelI14subtract_rightLj256ELj8ELb0EJPaS1_jEEvDpT3_
		.amdhsa_group_segment_fixed_size 512
		.amdhsa_private_segment_fixed_size 0
		.amdhsa_kernarg_size 20
		.amdhsa_user_sgpr_count 15
		.amdhsa_user_sgpr_dispatch_ptr 0
		.amdhsa_user_sgpr_queue_ptr 0
		.amdhsa_user_sgpr_kernarg_segment_ptr 1
		.amdhsa_user_sgpr_dispatch_id 0
		.amdhsa_user_sgpr_private_segment_size 0
		.amdhsa_wavefront_size32 1
		.amdhsa_uses_dynamic_stack 0
		.amdhsa_enable_private_segment 0
		.amdhsa_system_sgpr_workgroup_id_x 1
		.amdhsa_system_sgpr_workgroup_id_y 0
		.amdhsa_system_sgpr_workgroup_id_z 0
		.amdhsa_system_sgpr_workgroup_info 0
		.amdhsa_system_vgpr_workitem_id 0
		.amdhsa_next_free_vgpr 21
		.amdhsa_next_free_sgpr 16
		.amdhsa_reserve_vcc 1
		.amdhsa_float_round_mode_32 0
		.amdhsa_float_round_mode_16_64 0
		.amdhsa_float_denorm_mode_32 3
		.amdhsa_float_denorm_mode_16_64 3
		.amdhsa_dx10_clamp 1
		.amdhsa_ieee_mode 1
		.amdhsa_fp16_overflow 0
		.amdhsa_workgroup_processor_mode 1
		.amdhsa_memory_ordered 1
		.amdhsa_forward_progress 0
		.amdhsa_shared_vgpr_count 0
		.amdhsa_exception_fp_ieee_invalid_op 0
		.amdhsa_exception_fp_denorm_src 0
		.amdhsa_exception_fp_ieee_div_zero 0
		.amdhsa_exception_fp_ieee_overflow 0
		.amdhsa_exception_fp_ieee_underflow 0
		.amdhsa_exception_fp_ieee_inexact 0
		.amdhsa_exception_int_div_zero 0
	.end_amdhsa_kernel
	.section	.text._Z6kernelI14subtract_rightLj256ELj8ELb0EJPaS1_jEEvDpT3_,"axG",@progbits,_Z6kernelI14subtract_rightLj256ELj8ELb0EJPaS1_jEEvDpT3_,comdat
.Lfunc_end75:
	.size	_Z6kernelI14subtract_rightLj256ELj8ELb0EJPaS1_jEEvDpT3_, .Lfunc_end75-_Z6kernelI14subtract_rightLj256ELj8ELb0EJPaS1_jEEvDpT3_
                                        ; -- End function
	.section	.AMDGPU.csdata,"",@progbits
; Kernel info:
; codeLenInByte = 1080
; NumSgprs: 18
; NumVgprs: 21
; ScratchSize: 0
; MemoryBound: 0
; FloatMode: 240
; IeeeMode: 1
; LDSByteSize: 512 bytes/workgroup (compile time only)
; SGPRBlocks: 2
; VGPRBlocks: 2
; NumSGPRsForWavesPerEU: 18
; NumVGPRsForWavesPerEU: 21
; Occupancy: 16
; WaveLimiterHint : 1
; COMPUTE_PGM_RSRC2:SCRATCH_EN: 0
; COMPUTE_PGM_RSRC2:USER_SGPR: 15
; COMPUTE_PGM_RSRC2:TRAP_HANDLER: 0
; COMPUTE_PGM_RSRC2:TGID_X_EN: 1
; COMPUTE_PGM_RSRC2:TGID_Y_EN: 0
; COMPUTE_PGM_RSRC2:TGID_Z_EN: 0
; COMPUTE_PGM_RSRC2:TIDIG_COMP_CNT: 0
	.section	.text._Z6kernelI14subtract_rightLj256ELj16ELb0EJPaS1_jEEvDpT3_,"axG",@progbits,_Z6kernelI14subtract_rightLj256ELj16ELb0EJPaS1_jEEvDpT3_,comdat
	.protected	_Z6kernelI14subtract_rightLj256ELj16ELb0EJPaS1_jEEvDpT3_ ; -- Begin function _Z6kernelI14subtract_rightLj256ELj16ELb0EJPaS1_jEEvDpT3_
	.globl	_Z6kernelI14subtract_rightLj256ELj16ELb0EJPaS1_jEEvDpT3_
	.p2align	8
	.type	_Z6kernelI14subtract_rightLj256ELj16ELb0EJPaS1_jEEvDpT3_,@function
_Z6kernelI14subtract_rightLj256ELj16ELb0EJPaS1_jEEvDpT3_: ; @_Z6kernelI14subtract_rightLj256ELj16ELb0EJPaS1_jEEvDpT3_
; %bb.0:
	s_load_b128 s[4:7], s[0:1], 0x0
	s_lshl_b32 s2, s15, 12
	s_load_b32 s0, s[0:1], 0x10
	s_waitcnt lgkmcnt(0)
	s_add_u32 s4, s4, s2
	s_addc_u32 s5, s5, 0
	s_cmp_eq_u32 s0, 0
	s_clause 0xf
	global_load_u8 v1, v0, s[4:5] offset:256
	global_load_u8 v2, v0, s[4:5] offset:768
	;; [unrolled: 1-line block ×8, first 2 shown]
	global_load_u8 v9, v0, s[4:5]
	global_load_u8 v10, v0, s[4:5] offset:512
	global_load_u8 v11, v0, s[4:5] offset:1024
	;; [unrolled: 1-line block ×7, first 2 shown]
	s_waitcnt vmcnt(15)
	v_lshlrev_b16 v1, 8, v1
	s_waitcnt vmcnt(14)
	v_lshlrev_b16 v2, 8, v2
	;; [unrolled: 2-line block ×8, first 2 shown]
	s_waitcnt vmcnt(7)
	v_or_b32_e32 v1, v9, v1
	s_waitcnt vmcnt(6)
	v_or_b32_e32 v2, v10, v2
	;; [unrolled: 2-line block ×8, first 2 shown]
	v_and_b32_e32 v1, 0xffff, v1
	v_lshlrev_b32_e32 v2, 16, v2
	v_and_b32_e32 v9, 0xffff, v3
	v_lshlrev_b32_e32 v4, 16, v4
	v_and_b32_e32 v5, 0xffff, v5
	v_lshlrev_b32_e32 v6, 16, v6
	v_and_b32_e32 v7, 0xffff, v7
	v_lshlrev_b32_e32 v8, 16, v8
	v_or_b32_e32 v3, v1, v2
	v_or_b32_e32 v4, v9, v4
	;; [unrolled: 1-line block ×3, first 2 shown]
	s_delay_alu instid0(VALU_DEP_4)
	v_or_b32_e32 v2, v7, v8
	s_cbranch_scc1 .LBB76_5
; %bb.1:
	v_cmp_ne_u32_e32 vcc_lo, 0xff, v0
	s_branch .LBB76_3
.LBB76_2:                               ;   in Loop: Header=BB76_3 Depth=1
	s_or_b32 exec_lo, exec_lo, s1
	v_lshrrev_b32_e32 v19, 8, v28
	v_lshrrev_b32_e32 v7, 16, v28
	v_lshrrev_b32_e32 v20, 16, v26
	v_lshrrev_b32_e32 v22, 24, v28
	v_lshrrev_b32_e32 v18, 16, v27
	v_add_nc_u16 v14, v19, v14
	v_lshrrev_b32_e32 v19, 8, v27
	v_add_nc_u16 v7, v7, v13
	v_lshrrev_b32_e32 v13, 24, v27
	;; [unrolled: 2-line block ×4, first 2 shown]
	v_add_nc_u16 v13, v13, v15
	v_add_nc_u16 v4, v27, v4
	v_add_nc_u16 v11, v18, v11
	v_lshrrev_b32_e32 v18, 24, v26
	v_add_nc_u16 v15, v19, v16
	v_add_nc_u16 v16, v20, v17
	v_lshrrev_b32_e32 v17, 8, v24
	v_lshlrev_b16 v5, 8, v5
	v_and_b32_e32 v7, 0xff, v7
	v_add_nc_u16 v3, v28, v3
	v_add_nc_u16 v1, v26, v1
	v_add_nc_u16 v10, v17, v10
	v_lshrrev_b32_e32 v17, 24, v24
	v_add_nc_u16 v6, v18, v6
	v_add_nc_u16 v2, v24, v2
	v_and_b32_e32 v4, 0xff, v4
	v_lshlrev_b16 v12, 8, v12
	v_or_b32_e32 v5, v7, v5
	v_add_nc_u16 v7, v21, v8
	v_add_nc_u16 v8, v17, v9
	v_and_b32_e32 v3, 0xff, v3
	v_lshlrev_b16 v14, 8, v14
	v_or_b32_e32 v4, v4, v12
	v_lshlrev_b16 v9, 8, v13
	v_and_b32_e32 v11, 0xff, v11
	v_and_b32_e32 v1, 0xff, v1
	v_lshlrev_b16 v12, 8, v15
	v_lshlrev_b16 v6, 8, v6
	v_and_b32_e32 v13, 0xff, v16
	v_and_b32_e32 v2, 0xff, v2
	v_lshlrev_b16 v10, 8, v10
	v_lshlrev_b16 v8, 8, v8
	v_and_b32_e32 v7, 0xff, v7
	v_or_b32_e32 v3, v3, v14
	v_or_b32_e32 v9, v11, v9
	;; [unrolled: 1-line block ×6, first 2 shown]
	v_and_b32_e32 v3, 0xffff, v3
	v_lshlrev_b32_e32 v5, 16, v5
	v_and_b32_e32 v4, 0xffff, v4
	v_lshlrev_b32_e32 v8, 16, v9
	v_and_b32_e32 v1, 0xffff, v1
	v_lshlrev_b32_e32 v6, 16, v6
	v_and_b32_e32 v2, 0xffff, v2
	v_lshlrev_b32_e32 v7, 16, v7
	v_or_b32_e32 v3, v3, v5
	v_or_b32_e32 v4, v4, v8
	;; [unrolled: 1-line block ×3, first 2 shown]
	s_add_i32 s0, s0, -1
	v_or_b32_e32 v2, v2, v7
	s_cmp_lg_u32 s0, 0
	s_barrier
	buffer_gl0_inv
	s_cbranch_scc0 .LBB76_5
.LBB76_3:                               ; =>This Inner Loop Header: Depth=1
	v_lshrrev_b32_e32 v14, 8, v3
	v_lshrrev_b32_e32 v13, 16, v3
	;; [unrolled: 1-line block ×5, first 2 shown]
	v_sub_nc_u16 v5, v3, v14
	v_sub_nc_u16 v6, v14, v13
	v_lshrrev_b32_e32 v12, 8, v4
	v_sub_nc_u16 v7, v8, v9
	v_lshrrev_b32_e32 v10, 8, v2
	v_and_b32_e32 v15, 0xff, v5
	v_lshlrev_b16 v16, 8, v6
	v_lshrrev_b64 v[5:6], 24, v[3:4]
	v_and_b32_e32 v6, 0xffffff00, v8
	v_and_b32_e32 v7, 0xff, v7
	v_sub_nc_u16 v17, v12, v11
	v_or_b32_e32 v23, v15, v16
	v_sub_nc_u16 v15, v4, v12
	v_sub_nc_u16 v16, v13, v5
	v_or_b32_e32 v19, v7, v6
	v_sub_nc_u16 v6, v5, v4
	v_lshlrev_b16 v21, 8, v17
	v_and_b32_e32 v20, 0xff, v15
	v_lshrrev_b32_e32 v15, 24, v4
	v_and_b32_e32 v7, 0xff, v16
	v_lshrrev_b32_e32 v16, 8, v1
	v_lshrrev_b32_e32 v17, 16, v1
	v_lshlrev_b16 v24, 8, v6
	v_or_b32_e32 v25, v20, v21
	v_sub_nc_u16 v6, v11, v15
	v_sub_nc_u16 v21, v15, v1
	;; [unrolled: 1-line block ×6, first 2 shown]
	v_and_b32_e32 v27, 0xff, v6
	v_lshlrev_b16 v28, 8, v21
	v_or_b32_e32 v21, v7, v24
	v_lshrrev_b64 v[6:7], 24, v[1:2]
	v_and_b32_e32 v18, 0xffff, v23
	v_and_b32_e32 v22, 0xff, v22
	v_lshlrev_b16 v26, 8, v26
	v_and_b32_e32 v29, 0xff, v29
	v_lshlrev_b16 v30, 8, v30
	v_and_b32_e32 v20, 0xffff, v25
	v_sub_nc_u16 v31, v17, v6
	v_or_b32_e32 v26, v22, v26
	v_lshrrev_b32_e32 v32, 8, v18
	v_sub_nc_u16 v33, v6, v2
	v_lshrrev_b32_e32 v24, 8, v24
	v_or_b32_e32 v29, v29, v30
	v_or_b32_e32 v7, v27, v28
	v_lshrrev_b32_e32 v27, 8, v20
	v_and_b32_e32 v22, 0xffff, v26
	v_and_b32_e32 v31, 0xff, v31
	;; [unrolled: 1-line block ×3, first 2 shown]
	v_lshlrev_b16 v30, 8, v32
	v_and_b32_e32 v32, 0xff, v21
	v_lshlrev_b16 v24, 8, v24
	v_and_b32_e32 v34, 0xff, v25
	;; [unrolled: 2-line block ×3, first 2 shown]
	v_lshrrev_b32_e32 v28, 8, v28
	v_lshlrev_b16 v27, 8, v27
	v_or_b32_e32 v30, v23, v30
	v_or_b32_e32 v24, v32, v24
	;; [unrolled: 1-line block ×3, first 2 shown]
	v_lshrrev_b32_e32 v31, 8, v25
	v_lshrrev_b32_e32 v32, 8, v22
	;; [unrolled: 1-line block ×3, first 2 shown]
	v_or_b32_e32 v27, v34, v27
	v_and_b32_e32 v34, 0xff, v7
	v_lshlrev_b16 v28, 8, v28
	v_and_b32_e32 v26, 0xff, v26
	v_lshlrev_b16 v32, 8, v32
	;; [unrolled: 2-line block ×5, first 2 shown]
	v_or_b32_e32 v28, v34, v28
	v_or_b32_e32 v26, v26, v32
	;; [unrolled: 1-line block ×5, first 2 shown]
	v_and_b32_e32 v30, 0xffff, v30
	v_lshlrev_b32_e32 v24, 16, v24
	v_and_b32_e32 v27, 0xffff, v27
	v_lshlrev_b32_e32 v33, 16, v28
	;; [unrolled: 2-line block ×4, first 2 shown]
	v_or_b32_e32 v28, v30, v24
	v_or_b32_e32 v27, v27, v33
	;; [unrolled: 1-line block ×3, first 2 shown]
	ds_store_b8 v0, v3 offset:256
	v_or_b32_e32 v24, v29, v31
	s_waitcnt lgkmcnt(0)
	s_barrier
	buffer_gl0_inv
	s_and_saveexec_b32 s1, vcc_lo
	s_cbranch_execz .LBB76_2
; %bb.4:                                ;   in Loop: Header=BB76_3 Depth=1
	ds_load_u8 v24, v0 offset:257
	v_lshlrev_b32_e32 v19, 16, v19
	v_lshlrev_b32_e32 v21, 16, v21
	;; [unrolled: 1-line block ×4, first 2 shown]
	s_delay_alu instid0(VALU_DEP_4) | instskip(NEXT) | instid1(VALU_DEP_4)
	v_or_b32_e32 v19, v25, v19
	v_or_b32_e32 v28, v18, v21
	s_delay_alu instid0(VALU_DEP_4) | instskip(NEXT) | instid1(VALU_DEP_3)
	v_or_b32_e32 v27, v20, v7
	v_lshrrev_b32_e32 v25, 8, v19
	v_lshrrev_b32_e32 v26, 16, v19
	v_and_b32_e32 v19, 0xff, v19
	s_delay_alu instid0(VALU_DEP_3) | instskip(NEXT) | instid1(VALU_DEP_3)
	v_lshlrev_b16 v25, 8, v25
	v_and_b32_e32 v26, 0xff, v26
	s_waitcnt lgkmcnt(0)
	v_sub_nc_u16 v24, v9, v24
	s_delay_alu instid0(VALU_DEP_3) | instskip(NEXT) | instid1(VALU_DEP_2)
	v_or_b32_e32 v19, v19, v25
	v_lshlrev_b16 v24, 8, v24
	s_delay_alu instid0(VALU_DEP_2) | instskip(NEXT) | instid1(VALU_DEP_2)
	v_and_b32_e32 v19, 0xffff, v19
	v_or_b32_e32 v24, v26, v24
	v_or_b32_e32 v26, v22, v23
	s_delay_alu instid0(VALU_DEP_2) | instskip(NEXT) | instid1(VALU_DEP_1)
	v_lshlrev_b32_e32 v24, 16, v24
	v_or_b32_e32 v24, v19, v24
	s_branch .LBB76_2
.LBB76_5:
	s_add_u32 s0, s6, s2
	s_addc_u32 s1, s7, 0
	v_add_co_u32 v5, s0, s0, v0
	s_delay_alu instid0(VALU_DEP_1)
	v_add_co_ci_u32_e64 v6, null, s1, 0, s0
	v_lshrrev_b32_e32 v0, 8, v3
	v_lshrrev_b32_e32 v7, 24, v3
	v_lshrrev_b32_e32 v8, 8, v4
	v_lshrrev_b32_e32 v9, 24, v4
	s_clause 0x7
	global_store_b8 v[5:6], v3, off
	global_store_b8 v[5:6], v0, off offset:256
	global_store_d16_hi_b8 v[5:6], v3, off offset:512
	global_store_b8 v[5:6], v7, off offset:768
	global_store_b8 v[5:6], v4, off offset:1024
	;; [unrolled: 1-line block ×3, first 2 shown]
	global_store_d16_hi_b8 v[5:6], v4, off offset:1536
	global_store_b8 v[5:6], v9, off offset:1792
	v_lshrrev_b32_e32 v0, 8, v1
	v_lshrrev_b32_e32 v3, 24, v1
	;; [unrolled: 1-line block ×4, first 2 shown]
	s_clause 0x7
	global_store_b8 v[5:6], v1, off offset:2048
	global_store_b8 v[5:6], v0, off offset:2304
	global_store_d16_hi_b8 v[5:6], v1, off offset:2560
	global_store_b8 v[5:6], v3, off offset:2816
	global_store_b8 v[5:6], v2, off offset:3072
	;; [unrolled: 1-line block ×3, first 2 shown]
	global_store_d16_hi_b8 v[5:6], v2, off offset:3584
	global_store_b8 v[5:6], v7, off offset:3840
	s_nop 0
	s_sendmsg sendmsg(MSG_DEALLOC_VGPRS)
	s_endpgm
	.section	.rodata,"a",@progbits
	.p2align	6, 0x0
	.amdhsa_kernel _Z6kernelI14subtract_rightLj256ELj16ELb0EJPaS1_jEEvDpT3_
		.amdhsa_group_segment_fixed_size 512
		.amdhsa_private_segment_fixed_size 0
		.amdhsa_kernarg_size 20
		.amdhsa_user_sgpr_count 15
		.amdhsa_user_sgpr_dispatch_ptr 0
		.amdhsa_user_sgpr_queue_ptr 0
		.amdhsa_user_sgpr_kernarg_segment_ptr 1
		.amdhsa_user_sgpr_dispatch_id 0
		.amdhsa_user_sgpr_private_segment_size 0
		.amdhsa_wavefront_size32 1
		.amdhsa_uses_dynamic_stack 0
		.amdhsa_enable_private_segment 0
		.amdhsa_system_sgpr_workgroup_id_x 1
		.amdhsa_system_sgpr_workgroup_id_y 0
		.amdhsa_system_sgpr_workgroup_id_z 0
		.amdhsa_system_sgpr_workgroup_info 0
		.amdhsa_system_vgpr_workitem_id 0
		.amdhsa_next_free_vgpr 38
		.amdhsa_next_free_sgpr 16
		.amdhsa_reserve_vcc 1
		.amdhsa_float_round_mode_32 0
		.amdhsa_float_round_mode_16_64 0
		.amdhsa_float_denorm_mode_32 3
		.amdhsa_float_denorm_mode_16_64 3
		.amdhsa_dx10_clamp 1
		.amdhsa_ieee_mode 1
		.amdhsa_fp16_overflow 0
		.amdhsa_workgroup_processor_mode 1
		.amdhsa_memory_ordered 1
		.amdhsa_forward_progress 0
		.amdhsa_shared_vgpr_count 0
		.amdhsa_exception_fp_ieee_invalid_op 0
		.amdhsa_exception_fp_denorm_src 0
		.amdhsa_exception_fp_ieee_div_zero 0
		.amdhsa_exception_fp_ieee_overflow 0
		.amdhsa_exception_fp_ieee_underflow 0
		.amdhsa_exception_fp_ieee_inexact 0
		.amdhsa_exception_int_div_zero 0
	.end_amdhsa_kernel
	.section	.text._Z6kernelI14subtract_rightLj256ELj16ELb0EJPaS1_jEEvDpT3_,"axG",@progbits,_Z6kernelI14subtract_rightLj256ELj16ELb0EJPaS1_jEEvDpT3_,comdat
.Lfunc_end76:
	.size	_Z6kernelI14subtract_rightLj256ELj16ELb0EJPaS1_jEEvDpT3_, .Lfunc_end76-_Z6kernelI14subtract_rightLj256ELj16ELb0EJPaS1_jEEvDpT3_
                                        ; -- End function
	.section	.AMDGPU.csdata,"",@progbits
; Kernel info:
; codeLenInByte = 1844
; NumSgprs: 18
; NumVgprs: 38
; ScratchSize: 0
; MemoryBound: 0
; FloatMode: 240
; IeeeMode: 1
; LDSByteSize: 512 bytes/workgroup (compile time only)
; SGPRBlocks: 2
; VGPRBlocks: 4
; NumSGPRsForWavesPerEU: 18
; NumVGPRsForWavesPerEU: 38
; Occupancy: 16
; WaveLimiterHint : 1
; COMPUTE_PGM_RSRC2:SCRATCH_EN: 0
; COMPUTE_PGM_RSRC2:USER_SGPR: 15
; COMPUTE_PGM_RSRC2:TRAP_HANDLER: 0
; COMPUTE_PGM_RSRC2:TGID_X_EN: 1
; COMPUTE_PGM_RSRC2:TGID_Y_EN: 0
; COMPUTE_PGM_RSRC2:TGID_Z_EN: 0
; COMPUTE_PGM_RSRC2:TIDIG_COMP_CNT: 0
	.section	.text._Z6kernelI14subtract_rightLj256ELj32ELb0EJPaS1_jEEvDpT3_,"axG",@progbits,_Z6kernelI14subtract_rightLj256ELj32ELb0EJPaS1_jEEvDpT3_,comdat
	.protected	_Z6kernelI14subtract_rightLj256ELj32ELb0EJPaS1_jEEvDpT3_ ; -- Begin function _Z6kernelI14subtract_rightLj256ELj32ELb0EJPaS1_jEEvDpT3_
	.globl	_Z6kernelI14subtract_rightLj256ELj32ELb0EJPaS1_jEEvDpT3_
	.p2align	8
	.type	_Z6kernelI14subtract_rightLj256ELj32ELb0EJPaS1_jEEvDpT3_,@function
_Z6kernelI14subtract_rightLj256ELj32ELb0EJPaS1_jEEvDpT3_: ; @_Z6kernelI14subtract_rightLj256ELj32ELb0EJPaS1_jEEvDpT3_
; %bb.0:
	s_load_b128 s[4:7], s[0:1], 0x0
	s_lshl_b32 s2, s15, 13
	s_load_b32 s0, s[0:1], 0x10
	s_waitcnt lgkmcnt(0)
	s_add_u32 s4, s4, s2
	s_addc_u32 s5, s5, 0
	v_add_co_u32 v1, s1, s4, v0
	s_delay_alu instid0(VALU_DEP_1)
	v_add_co_ci_u32_e64 v2, null, s5, 0, s1
	s_clause 0x7
	global_load_u8 v32, v0, s[4:5]
	global_load_u8 v31, v0, s[4:5] offset:256
	global_load_u8 v30, v0, s[4:5] offset:512
	;; [unrolled: 1-line block ×7, first 2 shown]
	v_add_co_u32 v33, vcc_lo, 0x1000, v1
	v_add_co_ci_u32_e32 v34, vcc_lo, 0, v2, vcc_lo
	s_clause 0x17
	global_load_u8 v24, v0, s[4:5] offset:2048
	global_load_u8 v23, v0, s[4:5] offset:2304
	;; [unrolled: 1-line block ×8, first 2 shown]
	global_load_u8 v16, v[33:34], off
	global_load_u8 v15, v[33:34], off offset:256
	global_load_u8 v14, v[33:34], off offset:512
	;; [unrolled: 1-line block ×15, first 2 shown]
	s_cmp_eq_u32 s0, 0
	s_cbranch_scc1 .LBB77_5
; %bb.1:
	v_cmp_ne_u32_e32 vcc_lo, 0xff, v0
	s_branch .LBB77_3
.LBB77_2:                               ;   in Loop: Header=BB77_3 Depth=1
	s_or_b32 exec_lo, exec_lo, s1
	v_sub_nc_u16 v34, v32, v31
	v_sub_nc_u16 v35, v31, v30
	v_sub_nc_u16 v36, v30, v29
	v_sub_nc_u16 v37, v29, v28
	v_sub_nc_u16 v38, v28, v27
	v_sub_nc_u16 v39, v27, v26
	v_sub_nc_u16 v40, v26, v25
	v_sub_nc_u16 v41, v25, v24
	v_sub_nc_u16 v42, v24, v23
	v_sub_nc_u16 v43, v23, v22
	v_sub_nc_u16 v44, v22, v21
	v_sub_nc_u16 v45, v21, v20
	v_sub_nc_u16 v46, v20, v19
	v_sub_nc_u16 v47, v19, v18
	v_sub_nc_u16 v48, v18, v17
	v_sub_nc_u16 v49, v17, v16
	v_sub_nc_u16 v50, v16, v15
	v_sub_nc_u16 v51, v15, v14
	v_sub_nc_u16 v52, v14, v13
	v_sub_nc_u16 v53, v13, v12
	v_sub_nc_u16 v54, v12, v11
	v_sub_nc_u16 v55, v11, v10
	v_sub_nc_u16 v56, v10, v9
	v_sub_nc_u16 v57, v9, v8
	v_sub_nc_u16 v58, v8, v7
	v_sub_nc_u16 v59, v7, v6
	v_sub_nc_u16 v60, v6, v5
	v_sub_nc_u16 v61, v5, v4
	v_sub_nc_u16 v62, v4, v3
	v_sub_nc_u16 v63, v3, v2
	v_sub_nc_u16 v64, v2, v1
	v_add_nc_u16 v32, v34, v32
	v_add_nc_u16 v31, v35, v31
	;; [unrolled: 1-line block ×32, first 2 shown]
	s_add_i32 s0, s0, -1
	s_delay_alu instid0(SALU_CYCLE_1)
	s_cmp_lg_u32 s0, 0
	s_barrier
	buffer_gl0_inv
	s_cbranch_scc0 .LBB77_5
.LBB77_3:                               ; =>This Inner Loop Header: Depth=1
	s_waitcnt vmcnt(0)
	v_mov_b32_e32 v33, v1
	ds_store_b8 v0, v32 offset:256
	s_waitcnt lgkmcnt(0)
	s_barrier
	buffer_gl0_inv
	s_and_saveexec_b32 s1, vcc_lo
	s_cbranch_execz .LBB77_2
; %bb.4:                                ;   in Loop: Header=BB77_3 Depth=1
	ds_load_u8 v33, v0 offset:257
	s_waitcnt lgkmcnt(0)
	v_sub_nc_u16 v33, v1, v33
	s_branch .LBB77_2
.LBB77_5:
	s_add_u32 s0, s6, s2
	s_addc_u32 s1, s7, 0
	v_add_co_u32 v33, s0, s0, v0
	s_delay_alu instid0(VALU_DEP_1)
	v_add_co_ci_u32_e64 v34, null, s1, 0, s0
	s_waitcnt vmcnt(31)
	global_store_b8 v[33:34], v32, off
	s_waitcnt vmcnt(30)
	global_store_b8 v[33:34], v31, off offset:256
	s_waitcnt vmcnt(29)
	global_store_b8 v[33:34], v30, off offset:512
	;; [unrolled: 2-line block ×7, first 2 shown]
	v_add_co_u32 v25, vcc_lo, 0x1000, v33
	v_add_co_ci_u32_e32 v26, vcc_lo, 0, v34, vcc_lo
	s_waitcnt vmcnt(23)
	global_store_b8 v[33:34], v24, off offset:2048
	s_waitcnt vmcnt(22)
	global_store_b8 v[33:34], v23, off offset:2304
	;; [unrolled: 2-line block ×8, first 2 shown]
	s_waitcnt vmcnt(15)
	global_store_b8 v[25:26], v16, off
	s_waitcnt vmcnt(14)
	global_store_b8 v[25:26], v15, off offset:256
	s_waitcnt vmcnt(13)
	global_store_b8 v[25:26], v14, off offset:512
	;; [unrolled: 2-line block ×15, first 2 shown]
	s_nop 0
	s_sendmsg sendmsg(MSG_DEALLOC_VGPRS)
	s_endpgm
	.section	.rodata,"a",@progbits
	.p2align	6, 0x0
	.amdhsa_kernel _Z6kernelI14subtract_rightLj256ELj32ELb0EJPaS1_jEEvDpT3_
		.amdhsa_group_segment_fixed_size 512
		.amdhsa_private_segment_fixed_size 0
		.amdhsa_kernarg_size 20
		.amdhsa_user_sgpr_count 15
		.amdhsa_user_sgpr_dispatch_ptr 0
		.amdhsa_user_sgpr_queue_ptr 0
		.amdhsa_user_sgpr_kernarg_segment_ptr 1
		.amdhsa_user_sgpr_dispatch_id 0
		.amdhsa_user_sgpr_private_segment_size 0
		.amdhsa_wavefront_size32 1
		.amdhsa_uses_dynamic_stack 0
		.amdhsa_enable_private_segment 0
		.amdhsa_system_sgpr_workgroup_id_x 1
		.amdhsa_system_sgpr_workgroup_id_y 0
		.amdhsa_system_sgpr_workgroup_id_z 0
		.amdhsa_system_sgpr_workgroup_info 0
		.amdhsa_system_vgpr_workitem_id 0
		.amdhsa_next_free_vgpr 65
		.amdhsa_next_free_sgpr 16
		.amdhsa_reserve_vcc 1
		.amdhsa_float_round_mode_32 0
		.amdhsa_float_round_mode_16_64 0
		.amdhsa_float_denorm_mode_32 3
		.amdhsa_float_denorm_mode_16_64 3
		.amdhsa_dx10_clamp 1
		.amdhsa_ieee_mode 1
		.amdhsa_fp16_overflow 0
		.amdhsa_workgroup_processor_mode 1
		.amdhsa_memory_ordered 1
		.amdhsa_forward_progress 0
		.amdhsa_shared_vgpr_count 0
		.amdhsa_exception_fp_ieee_invalid_op 0
		.amdhsa_exception_fp_denorm_src 0
		.amdhsa_exception_fp_ieee_div_zero 0
		.amdhsa_exception_fp_ieee_overflow 0
		.amdhsa_exception_fp_ieee_underflow 0
		.amdhsa_exception_fp_ieee_inexact 0
		.amdhsa_exception_int_div_zero 0
	.end_amdhsa_kernel
	.section	.text._Z6kernelI14subtract_rightLj256ELj32ELb0EJPaS1_jEEvDpT3_,"axG",@progbits,_Z6kernelI14subtract_rightLj256ELj32ELb0EJPaS1_jEEvDpT3_,comdat
.Lfunc_end77:
	.size	_Z6kernelI14subtract_rightLj256ELj32ELb0EJPaS1_jEEvDpT3_, .Lfunc_end77-_Z6kernelI14subtract_rightLj256ELj32ELb0EJPaS1_jEEvDpT3_
                                        ; -- End function
	.section	.AMDGPU.csdata,"",@progbits
; Kernel info:
; codeLenInByte = 1392
; NumSgprs: 18
; NumVgprs: 65
; ScratchSize: 0
; MemoryBound: 0
; FloatMode: 240
; IeeeMode: 1
; LDSByteSize: 512 bytes/workgroup (compile time only)
; SGPRBlocks: 2
; VGPRBlocks: 8
; NumSGPRsForWavesPerEU: 18
; NumVGPRsForWavesPerEU: 65
; Occupancy: 16
; WaveLimiterHint : 1
; COMPUTE_PGM_RSRC2:SCRATCH_EN: 0
; COMPUTE_PGM_RSRC2:USER_SGPR: 15
; COMPUTE_PGM_RSRC2:TRAP_HANDLER: 0
; COMPUTE_PGM_RSRC2:TGID_X_EN: 1
; COMPUTE_PGM_RSRC2:TGID_Y_EN: 0
; COMPUTE_PGM_RSRC2:TGID_Z_EN: 0
; COMPUTE_PGM_RSRC2:TIDIG_COMP_CNT: 0
	.section	.text._Z6kernelI14subtract_rightLj256ELj1ELb0EJPxS1_jEEvDpT3_,"axG",@progbits,_Z6kernelI14subtract_rightLj256ELj1ELb0EJPxS1_jEEvDpT3_,comdat
	.protected	_Z6kernelI14subtract_rightLj256ELj1ELb0EJPxS1_jEEvDpT3_ ; -- Begin function _Z6kernelI14subtract_rightLj256ELj1ELb0EJPxS1_jEEvDpT3_
	.globl	_Z6kernelI14subtract_rightLj256ELj1ELb0EJPxS1_jEEvDpT3_
	.p2align	8
	.type	_Z6kernelI14subtract_rightLj256ELj1ELb0EJPxS1_jEEvDpT3_,@function
_Z6kernelI14subtract_rightLj256ELj1ELb0EJPxS1_jEEvDpT3_: ; @_Z6kernelI14subtract_rightLj256ELj1ELb0EJPxS1_jEEvDpT3_
; %bb.0:
	s_load_b128 s[4:7], s[0:1], 0x0
	s_lshl_b32 s2, s15, 8
	s_mov_b32 s3, 0
	v_lshlrev_b32_e32 v5, 3, v0
	s_lshl_b64 s[2:3], s[2:3], 3
	s_load_b32 s1, s[0:1], 0x10
	s_waitcnt lgkmcnt(0)
	s_add_u32 s4, s4, s2
	s_addc_u32 s5, s5, s3
	global_load_b64 v[1:2], v5, s[4:5]
	s_cmp_eq_u32 s1, 0
	s_cbranch_scc1 .LBB78_5
; %bb.1:
	v_cmp_ne_u32_e32 vcc_lo, 0xff, v0
	v_or_b32_e32 v0, 0x800, v5
	s_branch .LBB78_3
	.p2align	6
.LBB78_2:                               ;   in Loop: Header=BB78_3 Depth=1
	s_or_b32 exec_lo, exec_lo, s4
	s_delay_alu instid0(VALU_DEP_2) | instskip(NEXT) | instid1(VALU_DEP_1)
	v_add_co_u32 v1, s0, v3, v1
	v_add_co_ci_u32_e64 v2, s0, v4, v2, s0
	s_add_i32 s1, s1, -1
	s_delay_alu instid0(SALU_CYCLE_1)
	s_cmp_lg_u32 s1, 0
	s_barrier
	buffer_gl0_inv
	s_cbranch_scc0 .LBB78_5
.LBB78_3:                               ; =>This Inner Loop Header: Depth=1
	s_waitcnt vmcnt(0)
	v_dual_mov_b32 v4, v2 :: v_dual_mov_b32 v3, v1
	ds_store_b64 v5, v[1:2] offset:2048
	s_waitcnt lgkmcnt(0)
	s_barrier
	buffer_gl0_inv
	s_and_saveexec_b32 s4, vcc_lo
	s_cbranch_execz .LBB78_2
; %bb.4:                                ;   in Loop: Header=BB78_3 Depth=1
	ds_load_b64 v[3:4], v0 offset:8
	s_waitcnt lgkmcnt(0)
	v_sub_co_u32 v3, s0, v1, v3
	s_delay_alu instid0(VALU_DEP_1)
	v_sub_co_ci_u32_e64 v4, s0, v2, v4, s0
	s_branch .LBB78_2
.LBB78_5:
	s_add_u32 s0, s6, s2
	s_addc_u32 s1, s7, s3
	s_waitcnt vmcnt(0)
	global_store_b64 v5, v[1:2], s[0:1]
	s_nop 0
	s_sendmsg sendmsg(MSG_DEALLOC_VGPRS)
	s_endpgm
	.section	.rodata,"a",@progbits
	.p2align	6, 0x0
	.amdhsa_kernel _Z6kernelI14subtract_rightLj256ELj1ELb0EJPxS1_jEEvDpT3_
		.amdhsa_group_segment_fixed_size 4096
		.amdhsa_private_segment_fixed_size 0
		.amdhsa_kernarg_size 20
		.amdhsa_user_sgpr_count 15
		.amdhsa_user_sgpr_dispatch_ptr 0
		.amdhsa_user_sgpr_queue_ptr 0
		.amdhsa_user_sgpr_kernarg_segment_ptr 1
		.amdhsa_user_sgpr_dispatch_id 0
		.amdhsa_user_sgpr_private_segment_size 0
		.amdhsa_wavefront_size32 1
		.amdhsa_uses_dynamic_stack 0
		.amdhsa_enable_private_segment 0
		.amdhsa_system_sgpr_workgroup_id_x 1
		.amdhsa_system_sgpr_workgroup_id_y 0
		.amdhsa_system_sgpr_workgroup_id_z 0
		.amdhsa_system_sgpr_workgroup_info 0
		.amdhsa_system_vgpr_workitem_id 0
		.amdhsa_next_free_vgpr 6
		.amdhsa_next_free_sgpr 16
		.amdhsa_reserve_vcc 1
		.amdhsa_float_round_mode_32 0
		.amdhsa_float_round_mode_16_64 0
		.amdhsa_float_denorm_mode_32 3
		.amdhsa_float_denorm_mode_16_64 3
		.amdhsa_dx10_clamp 1
		.amdhsa_ieee_mode 1
		.amdhsa_fp16_overflow 0
		.amdhsa_workgroup_processor_mode 1
		.amdhsa_memory_ordered 1
		.amdhsa_forward_progress 0
		.amdhsa_shared_vgpr_count 0
		.amdhsa_exception_fp_ieee_invalid_op 0
		.amdhsa_exception_fp_denorm_src 0
		.amdhsa_exception_fp_ieee_div_zero 0
		.amdhsa_exception_fp_ieee_overflow 0
		.amdhsa_exception_fp_ieee_underflow 0
		.amdhsa_exception_fp_ieee_inexact 0
		.amdhsa_exception_int_div_zero 0
	.end_amdhsa_kernel
	.section	.text._Z6kernelI14subtract_rightLj256ELj1ELb0EJPxS1_jEEvDpT3_,"axG",@progbits,_Z6kernelI14subtract_rightLj256ELj1ELb0EJPxS1_jEEvDpT3_,comdat
.Lfunc_end78:
	.size	_Z6kernelI14subtract_rightLj256ELj1ELb0EJPxS1_jEEvDpT3_, .Lfunc_end78-_Z6kernelI14subtract_rightLj256ELj1ELb0EJPxS1_jEEvDpT3_
                                        ; -- End function
	.section	.AMDGPU.csdata,"",@progbits
; Kernel info:
; codeLenInByte = 244
; NumSgprs: 18
; NumVgprs: 6
; ScratchSize: 0
; MemoryBound: 0
; FloatMode: 240
; IeeeMode: 1
; LDSByteSize: 4096 bytes/workgroup (compile time only)
; SGPRBlocks: 2
; VGPRBlocks: 0
; NumSGPRsForWavesPerEU: 18
; NumVGPRsForWavesPerEU: 6
; Occupancy: 16
; WaveLimiterHint : 0
; COMPUTE_PGM_RSRC2:SCRATCH_EN: 0
; COMPUTE_PGM_RSRC2:USER_SGPR: 15
; COMPUTE_PGM_RSRC2:TRAP_HANDLER: 0
; COMPUTE_PGM_RSRC2:TGID_X_EN: 1
; COMPUTE_PGM_RSRC2:TGID_Y_EN: 0
; COMPUTE_PGM_RSRC2:TGID_Z_EN: 0
; COMPUTE_PGM_RSRC2:TIDIG_COMP_CNT: 0
	.section	.text._Z6kernelI14subtract_rightLj256ELj3ELb0EJPxS1_jEEvDpT3_,"axG",@progbits,_Z6kernelI14subtract_rightLj256ELj3ELb0EJPxS1_jEEvDpT3_,comdat
	.protected	_Z6kernelI14subtract_rightLj256ELj3ELb0EJPxS1_jEEvDpT3_ ; -- Begin function _Z6kernelI14subtract_rightLj256ELj3ELb0EJPxS1_jEEvDpT3_
	.globl	_Z6kernelI14subtract_rightLj256ELj3ELb0EJPxS1_jEEvDpT3_
	.p2align	8
	.type	_Z6kernelI14subtract_rightLj256ELj3ELb0EJPxS1_jEEvDpT3_,@function
_Z6kernelI14subtract_rightLj256ELj3ELb0EJPxS1_jEEvDpT3_: ; @_Z6kernelI14subtract_rightLj256ELj3ELb0EJPxS1_jEEvDpT3_
; %bb.0:
	s_load_b128 s[4:7], s[0:1], 0x0
	s_mov_b32 s3, 0
	s_mul_i32 s2, s15, 0x300
	v_lshlrev_b32_e32 v9, 3, v0
	s_lshl_b64 s[2:3], s[2:3], 3
	s_load_b32 s1, s[0:1], 0x10
	s_waitcnt lgkmcnt(0)
	s_add_u32 s4, s4, s2
	s_addc_u32 s5, s5, s3
	v_add_co_u32 v1, s0, s4, v9
	s_delay_alu instid0(VALU_DEP_1) | instskip(SKIP_1) | instid1(VALU_DEP_2)
	v_add_co_ci_u32_e64 v2, null, s5, 0, s0
	s_cmp_eq_u32 s1, 0
	v_add_co_u32 v1, vcc_lo, 0x1000, v1
	s_delay_alu instid0(VALU_DEP_2)
	v_add_co_ci_u32_e32 v2, vcc_lo, 0, v2, vcc_lo
	s_clause 0x2
	global_load_b64 v[5:6], v9, s[4:5]
	global_load_b64 v[3:4], v9, s[4:5] offset:2048
	global_load_b64 v[1:2], v[1:2], off
	s_cbranch_scc1 .LBB79_5
; %bb.1:
	v_cmp_ne_u32_e32 vcc_lo, 0xff, v0
	v_or_b32_e32 v0, 0x800, v9
	s_set_inst_prefetch_distance 0x1
	s_branch .LBB79_3
	.p2align	6
.LBB79_2:                               ;   in Loop: Header=BB79_3 Depth=1
	s_or_b32 exec_lo, exec_lo, s4
	v_lshlrev_b64 v[5:6], 1, v[5:6]
	v_lshlrev_b64 v[10:11], 1, v[3:4]
	s_add_i32 s1, s1, -1
	s_delay_alu instid0(SALU_CYCLE_1) | instskip(SKIP_1) | instid1(VALU_DEP_2)
	s_cmp_lg_u32 s1, 0
	s_barrier
	v_sub_co_u32 v5, s0, v5, v3
	s_delay_alu instid0(VALU_DEP_1) | instskip(SKIP_1) | instid1(VALU_DEP_1)
	v_sub_co_ci_u32_e64 v6, s0, v6, v4, s0
	v_sub_co_u32 v3, s0, v10, v1
	v_sub_co_ci_u32_e64 v4, s0, v11, v2, s0
	v_add_co_u32 v1, s0, v7, v1
	s_delay_alu instid0(VALU_DEP_1)
	v_add_co_ci_u32_e64 v2, s0, v8, v2, s0
	buffer_gl0_inv
	s_cbranch_scc0 .LBB79_5
.LBB79_3:                               ; =>This Inner Loop Header: Depth=1
	s_waitcnt vmcnt(0)
	v_dual_mov_b32 v8, v2 :: v_dual_mov_b32 v7, v1
	ds_store_b64 v9, v[5:6] offset:2048
	s_waitcnt lgkmcnt(0)
	s_barrier
	buffer_gl0_inv
	s_and_saveexec_b32 s4, vcc_lo
	s_cbranch_execz .LBB79_2
; %bb.4:                                ;   in Loop: Header=BB79_3 Depth=1
	ds_load_b64 v[7:8], v0 offset:8
	s_waitcnt lgkmcnt(0)
	v_sub_co_u32 v7, s0, v1, v7
	s_delay_alu instid0(VALU_DEP_1)
	v_sub_co_ci_u32_e64 v8, s0, v2, v8, s0
	s_branch .LBB79_2
.LBB79_5:
	s_set_inst_prefetch_distance 0x2
	s_add_u32 s0, s6, s2
	s_addc_u32 s1, s7, s3
	v_add_co_u32 v0, s2, s0, v9
	s_delay_alu instid0(VALU_DEP_1) | instskip(NEXT) | instid1(VALU_DEP_2)
	v_add_co_ci_u32_e64 v8, null, s1, 0, s2
	v_add_co_u32 v7, vcc_lo, 0x1000, v0
	s_delay_alu instid0(VALU_DEP_2)
	v_add_co_ci_u32_e32 v8, vcc_lo, 0, v8, vcc_lo
	s_waitcnt vmcnt(2)
	global_store_b64 v9, v[5:6], s[0:1]
	s_waitcnt vmcnt(1)
	global_store_b64 v9, v[3:4], s[0:1] offset:2048
	s_waitcnt vmcnt(0)
	global_store_b64 v[7:8], v[1:2], off
	s_nop 0
	s_sendmsg sendmsg(MSG_DEALLOC_VGPRS)
	s_endpgm
	.section	.rodata,"a",@progbits
	.p2align	6, 0x0
	.amdhsa_kernel _Z6kernelI14subtract_rightLj256ELj3ELb0EJPxS1_jEEvDpT3_
		.amdhsa_group_segment_fixed_size 4096
		.amdhsa_private_segment_fixed_size 0
		.amdhsa_kernarg_size 20
		.amdhsa_user_sgpr_count 15
		.amdhsa_user_sgpr_dispatch_ptr 0
		.amdhsa_user_sgpr_queue_ptr 0
		.amdhsa_user_sgpr_kernarg_segment_ptr 1
		.amdhsa_user_sgpr_dispatch_id 0
		.amdhsa_user_sgpr_private_segment_size 0
		.amdhsa_wavefront_size32 1
		.amdhsa_uses_dynamic_stack 0
		.amdhsa_enable_private_segment 0
		.amdhsa_system_sgpr_workgroup_id_x 1
		.amdhsa_system_sgpr_workgroup_id_y 0
		.amdhsa_system_sgpr_workgroup_id_z 0
		.amdhsa_system_sgpr_workgroup_info 0
		.amdhsa_system_vgpr_workitem_id 0
		.amdhsa_next_free_vgpr 12
		.amdhsa_next_free_sgpr 16
		.amdhsa_reserve_vcc 1
		.amdhsa_float_round_mode_32 0
		.amdhsa_float_round_mode_16_64 0
		.amdhsa_float_denorm_mode_32 3
		.amdhsa_float_denorm_mode_16_64 3
		.amdhsa_dx10_clamp 1
		.amdhsa_ieee_mode 1
		.amdhsa_fp16_overflow 0
		.amdhsa_workgroup_processor_mode 1
		.amdhsa_memory_ordered 1
		.amdhsa_forward_progress 0
		.amdhsa_shared_vgpr_count 0
		.amdhsa_exception_fp_ieee_invalid_op 0
		.amdhsa_exception_fp_denorm_src 0
		.amdhsa_exception_fp_ieee_div_zero 0
		.amdhsa_exception_fp_ieee_overflow 0
		.amdhsa_exception_fp_ieee_underflow 0
		.amdhsa_exception_fp_ieee_inexact 0
		.amdhsa_exception_int_div_zero 0
	.end_amdhsa_kernel
	.section	.text._Z6kernelI14subtract_rightLj256ELj3ELb0EJPxS1_jEEvDpT3_,"axG",@progbits,_Z6kernelI14subtract_rightLj256ELj3ELb0EJPxS1_jEEvDpT3_,comdat
.Lfunc_end79:
	.size	_Z6kernelI14subtract_rightLj256ELj3ELb0EJPxS1_jEEvDpT3_, .Lfunc_end79-_Z6kernelI14subtract_rightLj256ELj3ELb0EJPxS1_jEEvDpT3_
                                        ; -- End function
	.section	.AMDGPU.csdata,"",@progbits
; Kernel info:
; codeLenInByte = 432
; NumSgprs: 18
; NumVgprs: 12
; ScratchSize: 0
; MemoryBound: 0
; FloatMode: 240
; IeeeMode: 1
; LDSByteSize: 4096 bytes/workgroup (compile time only)
; SGPRBlocks: 2
; VGPRBlocks: 1
; NumSGPRsForWavesPerEU: 18
; NumVGPRsForWavesPerEU: 12
; Occupancy: 16
; WaveLimiterHint : 1
; COMPUTE_PGM_RSRC2:SCRATCH_EN: 0
; COMPUTE_PGM_RSRC2:USER_SGPR: 15
; COMPUTE_PGM_RSRC2:TRAP_HANDLER: 0
; COMPUTE_PGM_RSRC2:TGID_X_EN: 1
; COMPUTE_PGM_RSRC2:TGID_Y_EN: 0
; COMPUTE_PGM_RSRC2:TGID_Z_EN: 0
; COMPUTE_PGM_RSRC2:TIDIG_COMP_CNT: 0
	.section	.text._Z6kernelI14subtract_rightLj256ELj4ELb0EJPxS1_jEEvDpT3_,"axG",@progbits,_Z6kernelI14subtract_rightLj256ELj4ELb0EJPxS1_jEEvDpT3_,comdat
	.protected	_Z6kernelI14subtract_rightLj256ELj4ELb0EJPxS1_jEEvDpT3_ ; -- Begin function _Z6kernelI14subtract_rightLj256ELj4ELb0EJPxS1_jEEvDpT3_
	.globl	_Z6kernelI14subtract_rightLj256ELj4ELb0EJPxS1_jEEvDpT3_
	.p2align	8
	.type	_Z6kernelI14subtract_rightLj256ELj4ELb0EJPxS1_jEEvDpT3_,@function
_Z6kernelI14subtract_rightLj256ELj4ELb0EJPxS1_jEEvDpT3_: ; @_Z6kernelI14subtract_rightLj256ELj4ELb0EJPxS1_jEEvDpT3_
; %bb.0:
	s_load_b128 s[4:7], s[0:1], 0x0
	s_mov_b32 s3, 0
	s_lshl_b32 s2, s15, 10
	v_lshlrev_b32_e32 v11, 3, v0
	s_lshl_b64 s[2:3], s[2:3], 3
	s_load_b32 s1, s[0:1], 0x10
	s_waitcnt lgkmcnt(0)
	s_add_u32 s4, s4, s2
	s_addc_u32 s5, s5, s3
	v_add_co_u32 v1, s0, s4, v11
	s_delay_alu instid0(VALU_DEP_1) | instskip(SKIP_1) | instid1(VALU_DEP_2)
	v_add_co_ci_u32_e64 v2, null, s5, 0, s0
	s_cmp_eq_u32 s1, 0
	v_add_co_u32 v1, vcc_lo, 0x1000, v1
	s_delay_alu instid0(VALU_DEP_2)
	v_add_co_ci_u32_e32 v2, vcc_lo, 0, v2, vcc_lo
	s_clause 0x3
	global_load_b64 v[7:8], v11, s[4:5]
	global_load_b64 v[3:4], v11, s[4:5] offset:2048
	global_load_b64 v[5:6], v[1:2], off
	global_load_b64 v[1:2], v[1:2], off offset:2048
	s_cbranch_scc1 .LBB80_5
; %bb.1:
	v_cmp_ne_u32_e32 vcc_lo, 0xff, v0
	v_or_b32_e32 v0, 0x800, v11
	s_set_inst_prefetch_distance 0x1
	s_branch .LBB80_3
	.p2align	6
.LBB80_2:                               ;   in Loop: Header=BB80_3 Depth=1
	s_or_b32 exec_lo, exec_lo, s4
	v_lshlrev_b64 v[7:8], 1, v[7:8]
	v_lshlrev_b64 v[12:13], 1, v[3:4]
	;; [unrolled: 1-line block ×3, first 2 shown]
	s_add_i32 s1, s1, -1
	s_delay_alu instid0(SALU_CYCLE_1) | instskip(NEXT) | instid1(VALU_DEP_3)
	s_cmp_lg_u32 s1, 0
	v_sub_co_u32 v7, s0, v7, v3
	s_delay_alu instid0(VALU_DEP_1) | instskip(SKIP_1) | instid1(VALU_DEP_1)
	v_sub_co_ci_u32_e64 v8, s0, v8, v4, s0
	v_sub_co_u32 v3, s0, v12, v5
	v_sub_co_ci_u32_e64 v4, s0, v13, v6, s0
	v_sub_co_u32 v5, s0, v14, v1
	s_delay_alu instid0(VALU_DEP_1) | instskip(SKIP_1) | instid1(VALU_DEP_1)
	v_sub_co_ci_u32_e64 v6, s0, v15, v2, s0
	v_add_co_u32 v1, s0, v9, v1
	v_add_co_ci_u32_e64 v2, s0, v10, v2, s0
	s_barrier
	buffer_gl0_inv
	s_cbranch_scc0 .LBB80_5
.LBB80_3:                               ; =>This Inner Loop Header: Depth=1
	s_waitcnt vmcnt(0)
	v_dual_mov_b32 v10, v2 :: v_dual_mov_b32 v9, v1
	ds_store_b64 v11, v[7:8] offset:2048
	s_waitcnt lgkmcnt(0)
	s_barrier
	buffer_gl0_inv
	s_and_saveexec_b32 s4, vcc_lo
	s_cbranch_execz .LBB80_2
; %bb.4:                                ;   in Loop: Header=BB80_3 Depth=1
	ds_load_b64 v[9:10], v0 offset:8
	s_waitcnt lgkmcnt(0)
	v_sub_co_u32 v9, s0, v1, v9
	s_delay_alu instid0(VALU_DEP_1)
	v_sub_co_ci_u32_e64 v10, s0, v2, v10, s0
	s_branch .LBB80_2
.LBB80_5:
	s_set_inst_prefetch_distance 0x2
	s_add_u32 s0, s6, s2
	s_addc_u32 s1, s7, s3
	v_add_co_u32 v0, s2, s0, v11
	s_delay_alu instid0(VALU_DEP_1) | instskip(NEXT) | instid1(VALU_DEP_2)
	v_add_co_ci_u32_e64 v10, null, s1, 0, s2
	v_add_co_u32 v9, vcc_lo, 0x1000, v0
	s_delay_alu instid0(VALU_DEP_2)
	v_add_co_ci_u32_e32 v10, vcc_lo, 0, v10, vcc_lo
	s_waitcnt vmcnt(3)
	global_store_b64 v11, v[7:8], s[0:1]
	s_waitcnt vmcnt(2)
	global_store_b64 v11, v[3:4], s[0:1] offset:2048
	s_waitcnt vmcnt(1)
	global_store_b64 v[9:10], v[5:6], off
	s_waitcnt vmcnt(0)
	global_store_b64 v[9:10], v[1:2], off offset:2048
	s_nop 0
	s_sendmsg sendmsg(MSG_DEALLOC_VGPRS)
	s_endpgm
	.section	.rodata,"a",@progbits
	.p2align	6, 0x0
	.amdhsa_kernel _Z6kernelI14subtract_rightLj256ELj4ELb0EJPxS1_jEEvDpT3_
		.amdhsa_group_segment_fixed_size 4096
		.amdhsa_private_segment_fixed_size 0
		.amdhsa_kernarg_size 20
		.amdhsa_user_sgpr_count 15
		.amdhsa_user_sgpr_dispatch_ptr 0
		.amdhsa_user_sgpr_queue_ptr 0
		.amdhsa_user_sgpr_kernarg_segment_ptr 1
		.amdhsa_user_sgpr_dispatch_id 0
		.amdhsa_user_sgpr_private_segment_size 0
		.amdhsa_wavefront_size32 1
		.amdhsa_uses_dynamic_stack 0
		.amdhsa_enable_private_segment 0
		.amdhsa_system_sgpr_workgroup_id_x 1
		.amdhsa_system_sgpr_workgroup_id_y 0
		.amdhsa_system_sgpr_workgroup_id_z 0
		.amdhsa_system_sgpr_workgroup_info 0
		.amdhsa_system_vgpr_workitem_id 0
		.amdhsa_next_free_vgpr 16
		.amdhsa_next_free_sgpr 16
		.amdhsa_reserve_vcc 1
		.amdhsa_float_round_mode_32 0
		.amdhsa_float_round_mode_16_64 0
		.amdhsa_float_denorm_mode_32 3
		.amdhsa_float_denorm_mode_16_64 3
		.amdhsa_dx10_clamp 1
		.amdhsa_ieee_mode 1
		.amdhsa_fp16_overflow 0
		.amdhsa_workgroup_processor_mode 1
		.amdhsa_memory_ordered 1
		.amdhsa_forward_progress 0
		.amdhsa_shared_vgpr_count 0
		.amdhsa_exception_fp_ieee_invalid_op 0
		.amdhsa_exception_fp_denorm_src 0
		.amdhsa_exception_fp_ieee_div_zero 0
		.amdhsa_exception_fp_ieee_overflow 0
		.amdhsa_exception_fp_ieee_underflow 0
		.amdhsa_exception_fp_ieee_inexact 0
		.amdhsa_exception_int_div_zero 0
	.end_amdhsa_kernel
	.section	.text._Z6kernelI14subtract_rightLj256ELj4ELb0EJPxS1_jEEvDpT3_,"axG",@progbits,_Z6kernelI14subtract_rightLj256ELj4ELb0EJPxS1_jEEvDpT3_,comdat
.Lfunc_end80:
	.size	_Z6kernelI14subtract_rightLj256ELj4ELb0EJPxS1_jEEvDpT3_, .Lfunc_end80-_Z6kernelI14subtract_rightLj256ELj4ELb0EJPxS1_jEEvDpT3_
                                        ; -- End function
	.section	.AMDGPU.csdata,"",@progbits
; Kernel info:
; codeLenInByte = 472
; NumSgprs: 18
; NumVgprs: 16
; ScratchSize: 0
; MemoryBound: 0
; FloatMode: 240
; IeeeMode: 1
; LDSByteSize: 4096 bytes/workgroup (compile time only)
; SGPRBlocks: 2
; VGPRBlocks: 1
; NumSGPRsForWavesPerEU: 18
; NumVGPRsForWavesPerEU: 16
; Occupancy: 16
; WaveLimiterHint : 1
; COMPUTE_PGM_RSRC2:SCRATCH_EN: 0
; COMPUTE_PGM_RSRC2:USER_SGPR: 15
; COMPUTE_PGM_RSRC2:TRAP_HANDLER: 0
; COMPUTE_PGM_RSRC2:TGID_X_EN: 1
; COMPUTE_PGM_RSRC2:TGID_Y_EN: 0
; COMPUTE_PGM_RSRC2:TGID_Z_EN: 0
; COMPUTE_PGM_RSRC2:TIDIG_COMP_CNT: 0
	.section	.text._Z6kernelI14subtract_rightLj256ELj8ELb0EJPxS1_jEEvDpT3_,"axG",@progbits,_Z6kernelI14subtract_rightLj256ELj8ELb0EJPxS1_jEEvDpT3_,comdat
	.protected	_Z6kernelI14subtract_rightLj256ELj8ELb0EJPxS1_jEEvDpT3_ ; -- Begin function _Z6kernelI14subtract_rightLj256ELj8ELb0EJPxS1_jEEvDpT3_
	.globl	_Z6kernelI14subtract_rightLj256ELj8ELb0EJPxS1_jEEvDpT3_
	.p2align	8
	.type	_Z6kernelI14subtract_rightLj256ELj8ELb0EJPxS1_jEEvDpT3_,@function
_Z6kernelI14subtract_rightLj256ELj8ELb0EJPxS1_jEEvDpT3_: ; @_Z6kernelI14subtract_rightLj256ELj8ELb0EJPxS1_jEEvDpT3_
; %bb.0:
	s_load_b128 s[4:7], s[0:1], 0x0
	s_mov_b32 s3, 0
	s_lshl_b32 s2, s15, 11
	v_lshlrev_b32_e32 v19, 3, v0
	s_lshl_b64 s[2:3], s[2:3], 3
	s_load_b32 s1, s[0:1], 0x10
	s_waitcnt lgkmcnt(0)
	s_add_u32 s4, s4, s2
	s_addc_u32 s5, s5, s3
	v_add_co_u32 v1, s0, s4, v19
	s_delay_alu instid0(VALU_DEP_1) | instskip(SKIP_1) | instid1(VALU_DEP_2)
	v_add_co_ci_u32_e64 v2, null, s5, 0, s0
	s_cmp_eq_u32 s1, 0
	v_add_co_u32 v5, vcc_lo, 0x1000, v1
	s_delay_alu instid0(VALU_DEP_2)
	v_add_co_ci_u32_e32 v6, vcc_lo, 0, v2, vcc_lo
	v_add_co_u32 v13, vcc_lo, v1, 0x2000
	v_add_co_ci_u32_e32 v14, vcc_lo, 0, v2, vcc_lo
	v_add_co_u32 v9, vcc_lo, 0x2000, v1
	;; [unrolled: 2-line block ×3, first 2 shown]
	v_add_co_ci_u32_e32 v18, vcc_lo, 0, v2, vcc_lo
	s_clause 0x7
	global_load_b64 v[15:16], v[13:14], off
	global_load_b64 v[1:2], v19, s[4:5]
	global_load_b64 v[3:4], v19, s[4:5] offset:2048
	global_load_b64 v[7:8], v[5:6], off offset:2048
	global_load_b64 v[9:10], v[9:10], off offset:2048
	global_load_b64 v[11:12], v[17:18], off
	global_load_b64 v[5:6], v[13:14], off offset:-4096
	global_load_b64 v[13:14], v[17:18], off offset:2048
	s_cbranch_scc1 .LBB81_5
; %bb.1:
	v_cmp_ne_u32_e32 vcc_lo, 0xff, v0
	v_or_b32_e32 v0, 0x800, v19
	s_branch .LBB81_3
.LBB81_2:                               ;   in Loop: Header=BB81_3 Depth=1
	s_or_b32 exec_lo, exec_lo, s4
	v_sub_co_u32 v20, s0, v1, v3
	s_delay_alu instid0(VALU_DEP_1) | instskip(SKIP_1) | instid1(VALU_DEP_1)
	v_sub_co_ci_u32_e64 v21, s0, v2, v4, s0
	v_sub_co_u32 v22, s0, v3, v5
	v_sub_co_ci_u32_e64 v23, s0, v4, v6, s0
	v_sub_co_u32 v24, s0, v5, v7
	s_delay_alu instid0(VALU_DEP_1) | instskip(SKIP_1) | instid1(VALU_DEP_1)
	v_sub_co_ci_u32_e64 v25, s0, v6, v8, s0
	v_sub_co_u32 v26, s0, v7, v15
	v_sub_co_ci_u32_e64 v27, s0, v8, v16, s0
	;; [unrolled: 5-line block ×3, first 2 shown]
	v_sub_co_u32 v32, s0, v11, v13
	s_delay_alu instid0(VALU_DEP_1) | instskip(SKIP_1) | instid1(VALU_DEP_1)
	v_sub_co_ci_u32_e64 v33, s0, v12, v14, s0
	v_add_co_u32 v1, s0, v20, v1
	v_add_co_ci_u32_e64 v2, s0, v21, v2, s0
	v_add_co_u32 v3, s0, v22, v3
	s_delay_alu instid0(VALU_DEP_1) | instskip(SKIP_1) | instid1(VALU_DEP_1)
	v_add_co_ci_u32_e64 v4, s0, v23, v4, s0
	v_add_co_u32 v5, s0, v24, v5
	v_add_co_ci_u32_e64 v6, s0, v25, v6, s0
	v_add_co_u32 v7, s0, v26, v7
	s_delay_alu instid0(VALU_DEP_1) | instskip(SKIP_1) | instid1(VALU_DEP_1)
	v_add_co_ci_u32_e64 v8, s0, v27, v8, s0
	;; [unrolled: 5-line block ×3, first 2 shown]
	v_add_co_u32 v11, s0, v32, v11
	v_add_co_ci_u32_e64 v12, s0, v33, v12, s0
	v_add_co_u32 v13, s0, v17, v13
	s_delay_alu instid0(VALU_DEP_1) | instskip(SKIP_1) | instid1(SALU_CYCLE_1)
	v_add_co_ci_u32_e64 v14, s0, v18, v14, s0
	s_add_i32 s1, s1, -1
	s_cmp_lg_u32 s1, 0
	s_barrier
	buffer_gl0_inv
	s_cbranch_scc0 .LBB81_5
.LBB81_3:                               ; =>This Inner Loop Header: Depth=1
	s_waitcnt vmcnt(0)
	v_dual_mov_b32 v18, v14 :: v_dual_mov_b32 v17, v13
	ds_store_b64 v19, v[1:2] offset:2048
	s_waitcnt lgkmcnt(0)
	s_barrier
	buffer_gl0_inv
	s_and_saveexec_b32 s4, vcc_lo
	s_cbranch_execz .LBB81_2
; %bb.4:                                ;   in Loop: Header=BB81_3 Depth=1
	ds_load_b64 v[17:18], v0 offset:8
	s_waitcnt lgkmcnt(0)
	v_sub_co_u32 v17, s0, v13, v17
	s_delay_alu instid0(VALU_DEP_1)
	v_sub_co_ci_u32_e64 v18, s0, v14, v18, s0
	s_branch .LBB81_2
.LBB81_5:
	s_add_u32 s0, s6, s2
	s_addc_u32 s1, s7, s3
	v_add_co_u32 v0, s2, s0, v19
	s_delay_alu instid0(VALU_DEP_1) | instskip(NEXT) | instid1(VALU_DEP_2)
	v_add_co_ci_u32_e64 v24, null, s1, 0, s2
	v_add_co_u32 v17, vcc_lo, 0x1000, v0
	s_delay_alu instid0(VALU_DEP_2)
	v_add_co_ci_u32_e32 v18, vcc_lo, 0, v24, vcc_lo
	v_add_co_u32 v20, vcc_lo, v0, 0x2000
	v_add_co_ci_u32_e32 v21, vcc_lo, 0, v24, vcc_lo
	v_add_co_u32 v22, vcc_lo, 0x2000, v0
	v_add_co_ci_u32_e32 v23, vcc_lo, 0, v24, vcc_lo
	s_waitcnt vmcnt(7)
	global_store_b64 v[20:21], v[15:16], off
	v_add_co_u32 v15, vcc_lo, 0x3000, v0
	v_add_co_ci_u32_e32 v16, vcc_lo, 0, v24, vcc_lo
	s_waitcnt vmcnt(6)
	global_store_b64 v19, v[1:2], s[0:1]
	s_waitcnt vmcnt(5)
	global_store_b64 v19, v[3:4], s[0:1] offset:2048
	s_waitcnt vmcnt(4)
	global_store_b64 v[17:18], v[7:8], off offset:2048
	s_waitcnt vmcnt(3)
	global_store_b64 v[22:23], v[9:10], off offset:2048
	s_waitcnt vmcnt(2)
	global_store_b64 v[15:16], v[11:12], off
	s_waitcnt vmcnt(1)
	global_store_b64 v[20:21], v[5:6], off offset:-4096
	s_waitcnt vmcnt(0)
	global_store_b64 v[15:16], v[13:14], off offset:2048
	s_nop 0
	s_sendmsg sendmsg(MSG_DEALLOC_VGPRS)
	s_endpgm
	.section	.rodata,"a",@progbits
	.p2align	6, 0x0
	.amdhsa_kernel _Z6kernelI14subtract_rightLj256ELj8ELb0EJPxS1_jEEvDpT3_
		.amdhsa_group_segment_fixed_size 4096
		.amdhsa_private_segment_fixed_size 0
		.amdhsa_kernarg_size 20
		.amdhsa_user_sgpr_count 15
		.amdhsa_user_sgpr_dispatch_ptr 0
		.amdhsa_user_sgpr_queue_ptr 0
		.amdhsa_user_sgpr_kernarg_segment_ptr 1
		.amdhsa_user_sgpr_dispatch_id 0
		.amdhsa_user_sgpr_private_segment_size 0
		.amdhsa_wavefront_size32 1
		.amdhsa_uses_dynamic_stack 0
		.amdhsa_enable_private_segment 0
		.amdhsa_system_sgpr_workgroup_id_x 1
		.amdhsa_system_sgpr_workgroup_id_y 0
		.amdhsa_system_sgpr_workgroup_id_z 0
		.amdhsa_system_sgpr_workgroup_info 0
		.amdhsa_system_vgpr_workitem_id 0
		.amdhsa_next_free_vgpr 34
		.amdhsa_next_free_sgpr 16
		.amdhsa_reserve_vcc 1
		.amdhsa_float_round_mode_32 0
		.amdhsa_float_round_mode_16_64 0
		.amdhsa_float_denorm_mode_32 3
		.amdhsa_float_denorm_mode_16_64 3
		.amdhsa_dx10_clamp 1
		.amdhsa_ieee_mode 1
		.amdhsa_fp16_overflow 0
		.amdhsa_workgroup_processor_mode 1
		.amdhsa_memory_ordered 1
		.amdhsa_forward_progress 0
		.amdhsa_shared_vgpr_count 0
		.amdhsa_exception_fp_ieee_invalid_op 0
		.amdhsa_exception_fp_denorm_src 0
		.amdhsa_exception_fp_ieee_div_zero 0
		.amdhsa_exception_fp_ieee_overflow 0
		.amdhsa_exception_fp_ieee_underflow 0
		.amdhsa_exception_fp_ieee_inexact 0
		.amdhsa_exception_int_div_zero 0
	.end_amdhsa_kernel
	.section	.text._Z6kernelI14subtract_rightLj256ELj8ELb0EJPxS1_jEEvDpT3_,"axG",@progbits,_Z6kernelI14subtract_rightLj256ELj8ELb0EJPxS1_jEEvDpT3_,comdat
.Lfunc_end81:
	.size	_Z6kernelI14subtract_rightLj256ELj8ELb0EJPxS1_jEEvDpT3_, .Lfunc_end81-_Z6kernelI14subtract_rightLj256ELj8ELb0EJPxS1_jEEvDpT3_
                                        ; -- End function
	.section	.AMDGPU.csdata,"",@progbits
; Kernel info:
; codeLenInByte = 812
; NumSgprs: 18
; NumVgprs: 34
; ScratchSize: 0
; MemoryBound: 0
; FloatMode: 240
; IeeeMode: 1
; LDSByteSize: 4096 bytes/workgroup (compile time only)
; SGPRBlocks: 2
; VGPRBlocks: 4
; NumSGPRsForWavesPerEU: 18
; NumVGPRsForWavesPerEU: 34
; Occupancy: 16
; WaveLimiterHint : 1
; COMPUTE_PGM_RSRC2:SCRATCH_EN: 0
; COMPUTE_PGM_RSRC2:USER_SGPR: 15
; COMPUTE_PGM_RSRC2:TRAP_HANDLER: 0
; COMPUTE_PGM_RSRC2:TGID_X_EN: 1
; COMPUTE_PGM_RSRC2:TGID_Y_EN: 0
; COMPUTE_PGM_RSRC2:TGID_Z_EN: 0
; COMPUTE_PGM_RSRC2:TIDIG_COMP_CNT: 0
	.section	.text._Z6kernelI14subtract_rightLj256ELj16ELb0EJPxS1_jEEvDpT3_,"axG",@progbits,_Z6kernelI14subtract_rightLj256ELj16ELb0EJPxS1_jEEvDpT3_,comdat
	.protected	_Z6kernelI14subtract_rightLj256ELj16ELb0EJPxS1_jEEvDpT3_ ; -- Begin function _Z6kernelI14subtract_rightLj256ELj16ELb0EJPxS1_jEEvDpT3_
	.globl	_Z6kernelI14subtract_rightLj256ELj16ELb0EJPxS1_jEEvDpT3_
	.p2align	8
	.type	_Z6kernelI14subtract_rightLj256ELj16ELb0EJPxS1_jEEvDpT3_,@function
_Z6kernelI14subtract_rightLj256ELj16ELb0EJPxS1_jEEvDpT3_: ; @_Z6kernelI14subtract_rightLj256ELj16ELb0EJPxS1_jEEvDpT3_
; %bb.0:
	s_load_b128 s[4:7], s[0:1], 0x0
	s_mov_b32 s3, 0
	s_lshl_b32 s2, s15, 12
	v_lshlrev_b32_e32 v35, 3, v0
	s_lshl_b64 s[2:3], s[2:3], 3
	s_load_b32 s1, s[0:1], 0x10
	s_waitcnt lgkmcnt(0)
	s_add_u32 s4, s4, s2
	s_addc_u32 s5, s5, s3
	v_add_co_u32 v19, s0, s4, v35
	s_delay_alu instid0(VALU_DEP_1) | instskip(SKIP_1) | instid1(VALU_DEP_2)
	v_add_co_ci_u32_e64 v20, null, s5, 0, s0
	s_cmp_eq_u32 s1, 0
	v_add_co_u32 v1, vcc_lo, 0x1000, v19
	s_delay_alu instid0(VALU_DEP_2)
	v_add_co_ci_u32_e32 v2, vcc_lo, 0, v20, vcc_lo
	v_add_co_u32 v21, vcc_lo, v19, 0x2000
	v_add_co_ci_u32_e32 v22, vcc_lo, 0, v20, vcc_lo
	v_add_co_u32 v3, vcc_lo, 0x2000, v19
	v_add_co_ci_u32_e32 v4, vcc_lo, 0, v20, vcc_lo
	v_add_co_u32 v5, vcc_lo, 0x3000, v19
	v_add_co_ci_u32_e32 v6, vcc_lo, 0, v20, vcc_lo
	s_clause 0x4
	global_load_b64 v[29:30], v[21:22], off
	global_load_b64 v[23:24], v35, s[4:5]
	global_load_b64 v[25:26], v35, s[4:5] offset:2048
	global_load_b64 v[27:28], v[1:2], off offset:2048
	global_load_b64 v[31:32], v[3:4], off offset:2048
	v_add_co_u32 v1, vcc_lo, v19, 0x4000
	v_add_co_ci_u32_e32 v2, vcc_lo, 0, v20, vcc_lo
	v_add_co_u32 v9, vcc_lo, 0x4000, v19
	v_add_co_ci_u32_e32 v10, vcc_lo, 0, v20, vcc_lo
	;; [unrolled: 2-line block ×6, first 2 shown]
	s_clause 0xa
	global_load_b64 v[3:4], v[1:2], off offset:-4096
	global_load_b64 v[7:8], v[1:2], off
	global_load_b64 v[11:12], v[15:16], off offset:-4096
	global_load_b64 v[15:16], v[15:16], off
	global_load_b64 v[5:6], v[5:6], off offset:2048
	global_load_b64 v[9:10], v[9:10], off offset:2048
	global_load_b64 v[13:14], v[13:14], off offset:2048
	global_load_b64 v[17:18], v[17:18], off offset:2048
	global_load_b64 v[19:20], v[33:34], off
	global_load_b64 v[1:2], v[21:22], off offset:-4096
	global_load_b64 v[21:22], v[33:34], off offset:2048
	s_cbranch_scc1 .LBB82_5
; %bb.1:
	v_cmp_ne_u32_e32 vcc_lo, 0xff, v0
	v_or_b32_e32 v0, 0x800, v35
	s_branch .LBB82_3
.LBB82_2:                               ;   in Loop: Header=BB82_3 Depth=1
	s_or_b32 exec_lo, exec_lo, s4
	v_sub_co_u32 v36, s0, v23, v25
	s_delay_alu instid0(VALU_DEP_1) | instskip(SKIP_1) | instid1(VALU_DEP_1)
	v_sub_co_ci_u32_e64 v37, s0, v24, v26, s0
	v_sub_co_u32 v38, s0, v25, v1
	v_sub_co_ci_u32_e64 v39, s0, v26, v2, s0
	v_sub_co_u32 v40, s0, v1, v27
	s_delay_alu instid0(VALU_DEP_1) | instskip(SKIP_1) | instid1(VALU_DEP_1)
	v_sub_co_ci_u32_e64 v41, s0, v2, v28, s0
	v_sub_co_u32 v42, s0, v27, v29
	v_sub_co_ci_u32_e64 v43, s0, v28, v30, s0
	;; [unrolled: 5-line block ×7, first 2 shown]
	v_sub_co_u32 v64, s0, v19, v21
	s_delay_alu instid0(VALU_DEP_1) | instskip(SKIP_1) | instid1(VALU_DEP_1)
	v_sub_co_ci_u32_e64 v65, s0, v20, v22, s0
	v_add_co_u32 v23, s0, v36, v23
	v_add_co_ci_u32_e64 v24, s0, v37, v24, s0
	v_add_co_u32 v25, s0, v38, v25
	s_delay_alu instid0(VALU_DEP_1) | instskip(SKIP_1) | instid1(VALU_DEP_1)
	v_add_co_ci_u32_e64 v26, s0, v39, v26, s0
	v_add_co_u32 v1, s0, v40, v1
	v_add_co_ci_u32_e64 v2, s0, v41, v2, s0
	v_add_co_u32 v27, s0, v42, v27
	s_delay_alu instid0(VALU_DEP_1) | instskip(SKIP_1) | instid1(VALU_DEP_1)
	v_add_co_ci_u32_e64 v28, s0, v43, v28, s0
	v_add_co_u32 v29, s0, v44, v29
	v_add_co_ci_u32_e64 v30, s0, v45, v30, s0
	v_add_co_u32 v31, s0, v46, v31
	s_delay_alu instid0(VALU_DEP_1) | instskip(SKIP_1) | instid1(VALU_DEP_1)
	v_add_co_ci_u32_e64 v32, s0, v47, v32, s0
	v_add_co_u32 v3, s0, v48, v3
	v_add_co_ci_u32_e64 v4, s0, v49, v4, s0
	v_add_co_u32 v5, s0, v50, v5
	s_delay_alu instid0(VALU_DEP_1) | instskip(SKIP_1) | instid1(VALU_DEP_1)
	v_add_co_ci_u32_e64 v6, s0, v51, v6, s0
	v_add_co_u32 v7, s0, v52, v7
	v_add_co_ci_u32_e64 v8, s0, v53, v8, s0
	v_add_co_u32 v9, s0, v54, v9
	s_delay_alu instid0(VALU_DEP_1) | instskip(SKIP_1) | instid1(VALU_DEP_1)
	v_add_co_ci_u32_e64 v10, s0, v55, v10, s0
	v_add_co_u32 v11, s0, v56, v11
	v_add_co_ci_u32_e64 v12, s0, v57, v12, s0
	v_add_co_u32 v13, s0, v58, v13
	s_delay_alu instid0(VALU_DEP_1) | instskip(SKIP_1) | instid1(VALU_DEP_1)
	v_add_co_ci_u32_e64 v14, s0, v59, v14, s0
	v_add_co_u32 v15, s0, v60, v15
	v_add_co_ci_u32_e64 v16, s0, v61, v16, s0
	v_add_co_u32 v17, s0, v62, v17
	s_delay_alu instid0(VALU_DEP_1) | instskip(SKIP_1) | instid1(VALU_DEP_1)
	v_add_co_ci_u32_e64 v18, s0, v63, v18, s0
	v_add_co_u32 v19, s0, v64, v19
	v_add_co_ci_u32_e64 v20, s0, v65, v20, s0
	v_add_co_u32 v21, s0, v33, v21
	s_delay_alu instid0(VALU_DEP_1) | instskip(SKIP_1) | instid1(SALU_CYCLE_1)
	v_add_co_ci_u32_e64 v22, s0, v34, v22, s0
	s_add_i32 s1, s1, -1
	s_cmp_lg_u32 s1, 0
	s_barrier
	buffer_gl0_inv
	s_cbranch_scc0 .LBB82_5
.LBB82_3:                               ; =>This Inner Loop Header: Depth=1
	s_waitcnt vmcnt(0)
	v_dual_mov_b32 v34, v22 :: v_dual_mov_b32 v33, v21
	ds_store_b64 v35, v[23:24] offset:2048
	s_waitcnt lgkmcnt(0)
	s_barrier
	buffer_gl0_inv
	s_and_saveexec_b32 s4, vcc_lo
	s_cbranch_execz .LBB82_2
; %bb.4:                                ;   in Loop: Header=BB82_3 Depth=1
	ds_load_b64 v[33:34], v0 offset:8
	s_waitcnt lgkmcnt(0)
	v_sub_co_u32 v33, s0, v21, v33
	s_delay_alu instid0(VALU_DEP_1)
	v_sub_co_ci_u32_e64 v34, s0, v22, v34, s0
	s_branch .LBB82_2
.LBB82_5:
	s_add_u32 s0, s6, s2
	s_addc_u32 s1, s7, s3
	v_add_co_u32 v0, s2, s0, v35
	s_delay_alu instid0(VALU_DEP_1) | instskip(NEXT) | instid1(VALU_DEP_2)
	v_add_co_ci_u32_e64 v40, null, s1, 0, s2
	v_add_co_u32 v33, vcc_lo, 0x1000, v0
	s_delay_alu instid0(VALU_DEP_2)
	v_add_co_ci_u32_e32 v34, vcc_lo, 0, v40, vcc_lo
	v_add_co_u32 v36, vcc_lo, v0, 0x2000
	v_add_co_ci_u32_e32 v37, vcc_lo, 0, v40, vcc_lo
	v_add_co_u32 v38, vcc_lo, 0x2000, v0
	v_add_co_ci_u32_e32 v39, vcc_lo, 0, v40, vcc_lo
	s_waitcnt vmcnt(15)
	global_store_b64 v[36:37], v[29:30], off
	s_waitcnt vmcnt(14)
	global_store_b64 v35, v[23:24], s[0:1]
	s_waitcnt vmcnt(13)
	global_store_b64 v35, v[25:26], s[0:1] offset:2048
	s_waitcnt vmcnt(12)
	global_store_b64 v[33:34], v[27:28], off offset:2048
	s_waitcnt vmcnt(11)
	global_store_b64 v[38:39], v[31:32], off offset:2048
	v_add_co_u32 v23, vcc_lo, 0x3000, v0
	v_add_co_ci_u32_e32 v24, vcc_lo, 0, v40, vcc_lo
	v_add_co_u32 v25, vcc_lo, v0, 0x4000
	v_add_co_ci_u32_e32 v26, vcc_lo, 0, v40, vcc_lo
	v_add_co_u32 v27, vcc_lo, 0x4000, v0
	v_add_co_ci_u32_e32 v28, vcc_lo, 0, v40, vcc_lo
	v_add_co_u32 v29, vcc_lo, 0x5000, v0
	v_add_co_ci_u32_e32 v30, vcc_lo, 0, v40, vcc_lo
	v_add_co_u32 v31, vcc_lo, v0, 0x6000
	v_add_co_ci_u32_e32 v32, vcc_lo, 0, v40, vcc_lo
	v_add_co_u32 v33, vcc_lo, 0x6000, v0
	v_add_co_ci_u32_e32 v34, vcc_lo, 0, v40, vcc_lo
	s_waitcnt vmcnt(10)
	global_store_b64 v[25:26], v[3:4], off offset:-4096
	s_waitcnt vmcnt(9)
	global_store_b64 v[25:26], v[7:8], off
	s_waitcnt vmcnt(8)
	global_store_b64 v[31:32], v[11:12], off offset:-4096
	s_waitcnt vmcnt(7)
	global_store_b64 v[31:32], v[15:16], off
	v_add_co_u32 v3, vcc_lo, 0x7000, v0
	v_add_co_ci_u32_e32 v4, vcc_lo, 0, v40, vcc_lo
	s_waitcnt vmcnt(6)
	global_store_b64 v[23:24], v[5:6], off offset:2048
	s_waitcnt vmcnt(5)
	global_store_b64 v[27:28], v[9:10], off offset:2048
	;; [unrolled: 2-line block ×4, first 2 shown]
	s_waitcnt vmcnt(2)
	global_store_b64 v[3:4], v[19:20], off
	s_waitcnt vmcnt(1)
	global_store_b64 v[36:37], v[1:2], off offset:-4096
	s_waitcnt vmcnt(0)
	global_store_b64 v[3:4], v[21:22], off offset:2048
	s_nop 0
	s_sendmsg sendmsg(MSG_DEALLOC_VGPRS)
	s_endpgm
	.section	.rodata,"a",@progbits
	.p2align	6, 0x0
	.amdhsa_kernel _Z6kernelI14subtract_rightLj256ELj16ELb0EJPxS1_jEEvDpT3_
		.amdhsa_group_segment_fixed_size 4096
		.amdhsa_private_segment_fixed_size 0
		.amdhsa_kernarg_size 20
		.amdhsa_user_sgpr_count 15
		.amdhsa_user_sgpr_dispatch_ptr 0
		.amdhsa_user_sgpr_queue_ptr 0
		.amdhsa_user_sgpr_kernarg_segment_ptr 1
		.amdhsa_user_sgpr_dispatch_id 0
		.amdhsa_user_sgpr_private_segment_size 0
		.amdhsa_wavefront_size32 1
		.amdhsa_uses_dynamic_stack 0
		.amdhsa_enable_private_segment 0
		.amdhsa_system_sgpr_workgroup_id_x 1
		.amdhsa_system_sgpr_workgroup_id_y 0
		.amdhsa_system_sgpr_workgroup_id_z 0
		.amdhsa_system_sgpr_workgroup_info 0
		.amdhsa_system_vgpr_workitem_id 0
		.amdhsa_next_free_vgpr 66
		.amdhsa_next_free_sgpr 16
		.amdhsa_reserve_vcc 1
		.amdhsa_float_round_mode_32 0
		.amdhsa_float_round_mode_16_64 0
		.amdhsa_float_denorm_mode_32 3
		.amdhsa_float_denorm_mode_16_64 3
		.amdhsa_dx10_clamp 1
		.amdhsa_ieee_mode 1
		.amdhsa_fp16_overflow 0
		.amdhsa_workgroup_processor_mode 1
		.amdhsa_memory_ordered 1
		.amdhsa_forward_progress 0
		.amdhsa_shared_vgpr_count 0
		.amdhsa_exception_fp_ieee_invalid_op 0
		.amdhsa_exception_fp_denorm_src 0
		.amdhsa_exception_fp_ieee_div_zero 0
		.amdhsa_exception_fp_ieee_overflow 0
		.amdhsa_exception_fp_ieee_underflow 0
		.amdhsa_exception_fp_ieee_inexact 0
		.amdhsa_exception_int_div_zero 0
	.end_amdhsa_kernel
	.section	.text._Z6kernelI14subtract_rightLj256ELj16ELb0EJPxS1_jEEvDpT3_,"axG",@progbits,_Z6kernelI14subtract_rightLj256ELj16ELb0EJPxS1_jEEvDpT3_,comdat
.Lfunc_end82:
	.size	_Z6kernelI14subtract_rightLj256ELj16ELb0EJPxS1_jEEvDpT3_, .Lfunc_end82-_Z6kernelI14subtract_rightLj256ELj16ELb0EJPxS1_jEEvDpT3_
                                        ; -- End function
	.section	.AMDGPU.csdata,"",@progbits
; Kernel info:
; codeLenInByte = 1456
; NumSgprs: 18
; NumVgprs: 66
; ScratchSize: 0
; MemoryBound: 0
; FloatMode: 240
; IeeeMode: 1
; LDSByteSize: 4096 bytes/workgroup (compile time only)
; SGPRBlocks: 2
; VGPRBlocks: 8
; NumSGPRsForWavesPerEU: 18
; NumVGPRsForWavesPerEU: 66
; Occupancy: 16
; WaveLimiterHint : 1
; COMPUTE_PGM_RSRC2:SCRATCH_EN: 0
; COMPUTE_PGM_RSRC2:USER_SGPR: 15
; COMPUTE_PGM_RSRC2:TRAP_HANDLER: 0
; COMPUTE_PGM_RSRC2:TGID_X_EN: 1
; COMPUTE_PGM_RSRC2:TGID_Y_EN: 0
; COMPUTE_PGM_RSRC2:TGID_Z_EN: 0
; COMPUTE_PGM_RSRC2:TIDIG_COMP_CNT: 0
	.section	.text._Z6kernelI14subtract_rightLj256ELj32ELb0EJPxS1_jEEvDpT3_,"axG",@progbits,_Z6kernelI14subtract_rightLj256ELj32ELb0EJPxS1_jEEvDpT3_,comdat
	.protected	_Z6kernelI14subtract_rightLj256ELj32ELb0EJPxS1_jEEvDpT3_ ; -- Begin function _Z6kernelI14subtract_rightLj256ELj32ELb0EJPxS1_jEEvDpT3_
	.globl	_Z6kernelI14subtract_rightLj256ELj32ELb0EJPxS1_jEEvDpT3_
	.p2align	8
	.type	_Z6kernelI14subtract_rightLj256ELj32ELb0EJPxS1_jEEvDpT3_,@function
_Z6kernelI14subtract_rightLj256ELj32ELb0EJPxS1_jEEvDpT3_: ; @_Z6kernelI14subtract_rightLj256ELj32ELb0EJPxS1_jEEvDpT3_
; %bb.0:
	s_load_b128 s[4:7], s[0:1], 0x0
	s_mov_b32 s3, 0
	s_lshl_b32 s2, s15, 13
	v_lshlrev_b32_e32 v67, 3, v0
	s_lshl_b64 s[2:3], s[2:3], 3
	s_load_b32 s1, s[0:1], 0x10
	s_waitcnt lgkmcnt(0)
	s_add_u32 s4, s4, s2
	s_addc_u32 s5, s5, s3
	v_add_co_u32 v51, s0, s4, v67
	s_delay_alu instid0(VALU_DEP_1) | instskip(SKIP_1) | instid1(VALU_DEP_2)
	v_add_co_ci_u32_e64 v52, null, s5, 0, s0
	s_cmp_eq_u32 s1, 0
	v_add_co_u32 v1, vcc_lo, 0x1000, v51
	s_delay_alu instid0(VALU_DEP_2)
	v_add_co_ci_u32_e32 v2, vcc_lo, 0, v52, vcc_lo
	v_add_co_u32 v53, vcc_lo, v51, 0x2000
	v_add_co_ci_u32_e32 v54, vcc_lo, 0, v52, vcc_lo
	v_add_co_u32 v3, vcc_lo, 0x2000, v51
	;; [unrolled: 2-line block ×3, first 2 shown]
	v_add_co_ci_u32_e32 v6, vcc_lo, 0, v52, vcc_lo
	s_clause 0x4
	global_load_b64 v[61:62], v[53:54], off
	global_load_b64 v[55:56], v67, s[4:5]
	global_load_b64 v[57:58], v67, s[4:5] offset:2048
	global_load_b64 v[59:60], v[1:2], off offset:2048
	global_load_b64 v[63:64], v[3:4], off offset:2048
	v_add_co_u32 v1, vcc_lo, v51, 0x4000
	v_add_co_ci_u32_e32 v2, vcc_lo, 0, v52, vcc_lo
	v_add_co_u32 v9, vcc_lo, 0x4000, v51
	v_add_co_ci_u32_e32 v10, vcc_lo, 0, v52, vcc_lo
	;; [unrolled: 2-line block ×5, first 2 shown]
	s_clause 0x7
	global_load_b64 v[3:4], v[1:2], off offset:-4096
	global_load_b64 v[7:8], v[1:2], off
	global_load_b64 v[11:12], v[15:16], off offset:-4096
	global_load_b64 v[15:16], v[15:16], off
	global_load_b64 v[5:6], v[5:6], off offset:2048
	global_load_b64 v[9:10], v[9:10], off offset:2048
	;; [unrolled: 1-line block ×4, first 2 shown]
	v_add_co_u32 v1, vcc_lo, 0x7000, v51
	v_add_co_ci_u32_e32 v2, vcc_lo, 0, v52, vcc_lo
	v_add_co_u32 v21, vcc_lo, v51, 0x8000
	v_add_co_ci_u32_e32 v22, vcc_lo, 0, v52, vcc_lo
	;; [unrolled: 2-line block ×6, first 2 shown]
	s_clause 0x7
	global_load_b64 v[19:20], v[21:22], off offset:-4096
	global_load_b64 v[23:24], v[21:22], off
	global_load_b64 v[27:28], v[31:32], off offset:-4096
	global_load_b64 v[31:32], v[31:32], off
	global_load_b64 v[21:22], v[1:2], off offset:2048
	global_load_b64 v[25:26], v[25:26], off offset:2048
	;; [unrolled: 1-line block ×4, first 2 shown]
	v_add_co_u32 v1, vcc_lo, 0xb000, v51
	v_add_co_ci_u32_e32 v2, vcc_lo, 0, v52, vcc_lo
	v_add_co_u32 v37, vcc_lo, v51, 0xc000
	v_add_co_ci_u32_e32 v38, vcc_lo, 0, v52, vcc_lo
	;; [unrolled: 2-line block ×7, first 2 shown]
	s_clause 0xa
	global_load_b64 v[35:36], v[37:38], off offset:-4096
	global_load_b64 v[39:40], v[37:38], off
	global_load_b64 v[43:44], v[47:48], off offset:-4096
	global_load_b64 v[47:48], v[47:48], off
	global_load_b64 v[37:38], v[1:2], off offset:2048
	global_load_b64 v[41:42], v[41:42], off offset:2048
	;; [unrolled: 1-line block ×4, first 2 shown]
	global_load_b64 v[51:52], v[65:66], off
	global_load_b64 v[1:2], v[53:54], off offset:-4096
	global_load_b64 v[53:54], v[65:66], off offset:2048
	s_cbranch_scc1 .LBB83_5
; %bb.1:
	v_cmp_ne_u32_e32 vcc_lo, 0xff, v0
	v_or_b32_e32 v0, 0x800, v67
	s_branch .LBB83_3
.LBB83_2:                               ;   in Loop: Header=BB83_3 Depth=1
	s_or_b32 exec_lo, exec_lo, s4
	v_sub_co_u32 v68, s0, v55, v57
	s_delay_alu instid0(VALU_DEP_1) | instskip(SKIP_1) | instid1(VALU_DEP_1)
	v_sub_co_ci_u32_e64 v69, s0, v56, v58, s0
	v_sub_co_u32 v70, s0, v57, v1
	v_sub_co_ci_u32_e64 v71, s0, v58, v2, s0
	v_sub_co_u32 v72, s0, v1, v59
	s_delay_alu instid0(VALU_DEP_1) | instskip(SKIP_1) | instid1(VALU_DEP_1)
	v_sub_co_ci_u32_e64 v73, s0, v2, v60, s0
	v_sub_co_u32 v74, s0, v59, v61
	v_sub_co_ci_u32_e64 v75, s0, v60, v62, s0
	;; [unrolled: 5-line block ×6, first 2 shown]
	v_sub_co_u32 v92, s0, v15, v17
	s_delay_alu instid0(VALU_DEP_1) | instskip(SKIP_1) | instid1(VALU_DEP_1)
	v_sub_co_ci_u32_e64 v93, s0, v16, v18, s0
	v_add_co_u32 v55, s0, v68, v55
	v_add_co_ci_u32_e64 v56, s0, v69, v56, s0
	v_sub_co_u32 v68, s0, v17, v19
	s_delay_alu instid0(VALU_DEP_1) | instskip(SKIP_1) | instid1(VALU_DEP_1)
	v_sub_co_ci_u32_e64 v69, s0, v18, v20, s0
	v_add_co_u32 v57, s0, v70, v57
	v_add_co_ci_u32_e64 v58, s0, v71, v58, s0
	;; [unrolled: 5-line block ×19, first 2 shown]
	v_add_co_u32 v29, s0, v80, v29
	s_delay_alu instid0(VALU_DEP_1) | instskip(SKIP_1) | instid1(VALU_DEP_1)
	v_add_co_ci_u32_e64 v30, s0, v81, v30, s0
	v_add_co_u32 v31, s0, v82, v31
	v_add_co_ci_u32_e64 v32, s0, v83, v32, s0
	v_add_co_u32 v33, s0, v84, v33
	s_delay_alu instid0(VALU_DEP_1) | instskip(SKIP_1) | instid1(VALU_DEP_1)
	v_add_co_ci_u32_e64 v34, s0, v85, v34, s0
	v_add_co_u32 v35, s0, v86, v35
	v_add_co_ci_u32_e64 v36, s0, v87, v36, s0
	;; [unrolled: 5-line block ×6, first 2 shown]
	v_add_co_u32 v53, s0, v65, v53
	s_delay_alu instid0(VALU_DEP_1) | instskip(SKIP_1) | instid1(SALU_CYCLE_1)
	v_add_co_ci_u32_e64 v54, s0, v66, v54, s0
	s_add_i32 s1, s1, -1
	s_cmp_lg_u32 s1, 0
	s_barrier
	buffer_gl0_inv
	s_cbranch_scc0 .LBB83_5
.LBB83_3:                               ; =>This Inner Loop Header: Depth=1
	s_waitcnt vmcnt(0)
	v_dual_mov_b32 v66, v54 :: v_dual_mov_b32 v65, v53
	ds_store_b64 v67, v[55:56] offset:2048
	s_waitcnt lgkmcnt(0)
	s_barrier
	buffer_gl0_inv
	s_and_saveexec_b32 s4, vcc_lo
	s_cbranch_execz .LBB83_2
; %bb.4:                                ;   in Loop: Header=BB83_3 Depth=1
	ds_load_b64 v[65:66], v0 offset:8
	s_waitcnt lgkmcnt(0)
	v_sub_co_u32 v65, s0, v53, v65
	s_delay_alu instid0(VALU_DEP_1)
	v_sub_co_ci_u32_e64 v66, s0, v54, v66, s0
	s_branch .LBB83_2
.LBB83_5:
	s_add_u32 s0, s6, s2
	s_addc_u32 s1, s7, s3
	v_add_co_u32 v0, s2, s0, v67
	s_delay_alu instid0(VALU_DEP_1) | instskip(NEXT) | instid1(VALU_DEP_2)
	v_add_co_ci_u32_e64 v72, null, s1, 0, s2
	v_add_co_u32 v65, vcc_lo, 0x1000, v0
	s_delay_alu instid0(VALU_DEP_2)
	v_add_co_ci_u32_e32 v66, vcc_lo, 0, v72, vcc_lo
	v_add_co_u32 v68, vcc_lo, v0, 0x2000
	v_add_co_ci_u32_e32 v69, vcc_lo, 0, v72, vcc_lo
	v_add_co_u32 v70, vcc_lo, 0x2000, v0
	v_add_co_ci_u32_e32 v71, vcc_lo, 0, v72, vcc_lo
	s_waitcnt vmcnt(31)
	global_store_b64 v[68:69], v[61:62], off
	s_waitcnt vmcnt(30)
	global_store_b64 v67, v[55:56], s[0:1]
	s_waitcnt vmcnt(29)
	global_store_b64 v67, v[57:58], s[0:1] offset:2048
	s_waitcnt vmcnt(28)
	global_store_b64 v[65:66], v[59:60], off offset:2048
	s_waitcnt vmcnt(27)
	global_store_b64 v[70:71], v[63:64], off offset:2048
	v_add_co_u32 v55, vcc_lo, 0x3000, v0
	v_add_co_ci_u32_e32 v56, vcc_lo, 0, v72, vcc_lo
	v_add_co_u32 v57, vcc_lo, v0, 0x4000
	v_add_co_ci_u32_e32 v58, vcc_lo, 0, v72, vcc_lo
	;; [unrolled: 2-line block ×6, first 2 shown]
	s_waitcnt vmcnt(26)
	global_store_b64 v[57:58], v[3:4], off offset:-4096
	s_waitcnt vmcnt(25)
	global_store_b64 v[57:58], v[7:8], off
	s_waitcnt vmcnt(24)
	global_store_b64 v[63:64], v[11:12], off offset:-4096
	s_waitcnt vmcnt(23)
	global_store_b64 v[63:64], v[15:16], off
	s_waitcnt vmcnt(22)
	global_store_b64 v[55:56], v[5:6], off offset:2048
	s_waitcnt vmcnt(21)
	global_store_b64 v[59:60], v[9:10], off offset:2048
	;; [unrolled: 2-line block ×4, first 2 shown]
	v_add_co_u32 v3, vcc_lo, 0x7000, v0
	v_add_co_ci_u32_e32 v4, vcc_lo, 0, v72, vcc_lo
	v_add_co_u32 v5, vcc_lo, v0, 0x8000
	v_add_co_ci_u32_e32 v6, vcc_lo, 0, v72, vcc_lo
	;; [unrolled: 2-line block ×6, first 2 shown]
	s_waitcnt vmcnt(18)
	global_store_b64 v[5:6], v[19:20], off offset:-4096
	s_waitcnt vmcnt(17)
	global_store_b64 v[5:6], v[23:24], off
	s_waitcnt vmcnt(16)
	global_store_b64 v[11:12], v[27:28], off offset:-4096
	s_waitcnt vmcnt(15)
	global_store_b64 v[11:12], v[31:32], off
	s_waitcnt vmcnt(14)
	global_store_b64 v[3:4], v[21:22], off offset:2048
	s_waitcnt vmcnt(13)
	global_store_b64 v[7:8], v[25:26], off offset:2048
	;; [unrolled: 2-line block ×4, first 2 shown]
	v_add_co_u32 v3, vcc_lo, 0xb000, v0
	v_add_co_ci_u32_e32 v4, vcc_lo, 0, v72, vcc_lo
	v_add_co_u32 v5, vcc_lo, v0, 0xc000
	v_add_co_ci_u32_e32 v6, vcc_lo, 0, v72, vcc_lo
	;; [unrolled: 2-line block ×6, first 2 shown]
	s_waitcnt vmcnt(10)
	global_store_b64 v[5:6], v[35:36], off offset:-4096
	s_waitcnt vmcnt(9)
	global_store_b64 v[5:6], v[39:40], off
	s_waitcnt vmcnt(8)
	global_store_b64 v[11:12], v[43:44], off offset:-4096
	s_waitcnt vmcnt(7)
	global_store_b64 v[11:12], v[47:48], off
	v_add_co_u32 v5, vcc_lo, 0xf000, v0
	v_add_co_ci_u32_e32 v6, vcc_lo, 0, v72, vcc_lo
	s_waitcnt vmcnt(6)
	global_store_b64 v[3:4], v[37:38], off offset:2048
	s_waitcnt vmcnt(5)
	global_store_b64 v[7:8], v[41:42], off offset:2048
	;; [unrolled: 2-line block ×4, first 2 shown]
	s_waitcnt vmcnt(2)
	global_store_b64 v[5:6], v[51:52], off
	s_waitcnt vmcnt(1)
	global_store_b64 v[68:69], v[1:2], off offset:-4096
	s_waitcnt vmcnt(0)
	global_store_b64 v[5:6], v[53:54], off offset:2048
	s_nop 0
	s_sendmsg sendmsg(MSG_DEALLOC_VGPRS)
	s_endpgm
	.section	.rodata,"a",@progbits
	.p2align	6, 0x0
	.amdhsa_kernel _Z6kernelI14subtract_rightLj256ELj32ELb0EJPxS1_jEEvDpT3_
		.amdhsa_group_segment_fixed_size 4096
		.amdhsa_private_segment_fixed_size 0
		.amdhsa_kernarg_size 20
		.amdhsa_user_sgpr_count 15
		.amdhsa_user_sgpr_dispatch_ptr 0
		.amdhsa_user_sgpr_queue_ptr 0
		.amdhsa_user_sgpr_kernarg_segment_ptr 1
		.amdhsa_user_sgpr_dispatch_id 0
		.amdhsa_user_sgpr_private_segment_size 0
		.amdhsa_wavefront_size32 1
		.amdhsa_uses_dynamic_stack 0
		.amdhsa_enable_private_segment 0
		.amdhsa_system_sgpr_workgroup_id_x 1
		.amdhsa_system_sgpr_workgroup_id_y 0
		.amdhsa_system_sgpr_workgroup_id_z 0
		.amdhsa_system_sgpr_workgroup_info 0
		.amdhsa_system_vgpr_workitem_id 0
		.amdhsa_next_free_vgpr 94
		.amdhsa_next_free_sgpr 16
		.amdhsa_reserve_vcc 1
		.amdhsa_float_round_mode_32 0
		.amdhsa_float_round_mode_16_64 0
		.amdhsa_float_denorm_mode_32 3
		.amdhsa_float_denorm_mode_16_64 3
		.amdhsa_dx10_clamp 1
		.amdhsa_ieee_mode 1
		.amdhsa_fp16_overflow 0
		.amdhsa_workgroup_processor_mode 1
		.amdhsa_memory_ordered 1
		.amdhsa_forward_progress 0
		.amdhsa_shared_vgpr_count 0
		.amdhsa_exception_fp_ieee_invalid_op 0
		.amdhsa_exception_fp_denorm_src 0
		.amdhsa_exception_fp_ieee_div_zero 0
		.amdhsa_exception_fp_ieee_overflow 0
		.amdhsa_exception_fp_ieee_underflow 0
		.amdhsa_exception_fp_ieee_inexact 0
		.amdhsa_exception_int_div_zero 0
	.end_amdhsa_kernel
	.section	.text._Z6kernelI14subtract_rightLj256ELj32ELb0EJPxS1_jEEvDpT3_,"axG",@progbits,_Z6kernelI14subtract_rightLj256ELj32ELb0EJPxS1_jEEvDpT3_,comdat
.Lfunc_end83:
	.size	_Z6kernelI14subtract_rightLj256ELj32ELb0EJPxS1_jEEvDpT3_, .Lfunc_end83-_Z6kernelI14subtract_rightLj256ELj32ELb0EJPxS1_jEEvDpT3_
                                        ; -- End function
	.section	.AMDGPU.csdata,"",@progbits
; Kernel info:
; codeLenInByte = 2744
; NumSgprs: 18
; NumVgprs: 94
; ScratchSize: 0
; MemoryBound: 0
; FloatMode: 240
; IeeeMode: 1
; LDSByteSize: 4096 bytes/workgroup (compile time only)
; SGPRBlocks: 2
; VGPRBlocks: 11
; NumSGPRsForWavesPerEU: 18
; NumVGPRsForWavesPerEU: 94
; Occupancy: 16
; WaveLimiterHint : 1
; COMPUTE_PGM_RSRC2:SCRATCH_EN: 0
; COMPUTE_PGM_RSRC2:USER_SGPR: 15
; COMPUTE_PGM_RSRC2:TRAP_HANDLER: 0
; COMPUTE_PGM_RSRC2:TGID_X_EN: 1
; COMPUTE_PGM_RSRC2:TGID_Y_EN: 0
; COMPUTE_PGM_RSRC2:TGID_Z_EN: 0
; COMPUTE_PGM_RSRC2:TIDIG_COMP_CNT: 0
	.section	.text._Z6kernelI14subtract_rightLj256ELj1ELb0EJPdS1_jEEvDpT3_,"axG",@progbits,_Z6kernelI14subtract_rightLj256ELj1ELb0EJPdS1_jEEvDpT3_,comdat
	.protected	_Z6kernelI14subtract_rightLj256ELj1ELb0EJPdS1_jEEvDpT3_ ; -- Begin function _Z6kernelI14subtract_rightLj256ELj1ELb0EJPdS1_jEEvDpT3_
	.globl	_Z6kernelI14subtract_rightLj256ELj1ELb0EJPdS1_jEEvDpT3_
	.p2align	8
	.type	_Z6kernelI14subtract_rightLj256ELj1ELb0EJPdS1_jEEvDpT3_,@function
_Z6kernelI14subtract_rightLj256ELj1ELb0EJPdS1_jEEvDpT3_: ; @_Z6kernelI14subtract_rightLj256ELj1ELb0EJPdS1_jEEvDpT3_
; %bb.0:
	s_load_b128 s[4:7], s[0:1], 0x0
	s_lshl_b32 s2, s15, 8
	s_mov_b32 s3, 0
	v_lshlrev_b32_e32 v5, 3, v0
	s_lshl_b64 s[2:3], s[2:3], 3
	s_load_b32 s0, s[0:1], 0x10
	s_waitcnt lgkmcnt(0)
	s_add_u32 s4, s4, s2
	s_addc_u32 s5, s5, s3
	global_load_b64 v[1:2], v5, s[4:5]
	s_cmp_eq_u32 s0, 0
	s_cbranch_scc1 .LBB84_5
; %bb.1:
	v_cmp_ne_u32_e32 vcc_lo, 0xff, v0
	v_or_b32_e32 v0, 0x800, v5
	s_branch .LBB84_3
	.p2align	6
.LBB84_2:                               ;   in Loop: Header=BB84_3 Depth=1
	s_or_b32 exec_lo, exec_lo, s1
	s_delay_alu instid0(VALU_DEP_1) | instskip(SKIP_1) | instid1(SALU_CYCLE_1)
	v_add_f64 v[1:2], v[1:2], v[3:4]
	s_add_i32 s0, s0, -1
	s_cmp_lg_u32 s0, 0
	s_barrier
	buffer_gl0_inv
	s_cbranch_scc0 .LBB84_5
.LBB84_3:                               ; =>This Inner Loop Header: Depth=1
	s_waitcnt vmcnt(0)
	v_dual_mov_b32 v4, v2 :: v_dual_mov_b32 v3, v1
	ds_store_b64 v5, v[1:2] offset:2048
	s_waitcnt lgkmcnt(0)
	s_barrier
	buffer_gl0_inv
	s_and_saveexec_b32 s1, vcc_lo
	s_cbranch_execz .LBB84_2
; %bb.4:                                ;   in Loop: Header=BB84_3 Depth=1
	ds_load_b64 v[3:4], v0 offset:8
	s_waitcnt lgkmcnt(0)
	v_add_f64 v[3:4], v[1:2], -v[3:4]
	s_branch .LBB84_2
.LBB84_5:
	s_add_u32 s0, s6, s2
	s_addc_u32 s1, s7, s3
	s_waitcnt vmcnt(0)
	global_store_b64 v5, v[1:2], s[0:1]
	s_nop 0
	s_sendmsg sendmsg(MSG_DEALLOC_VGPRS)
	s_endpgm
	.section	.rodata,"a",@progbits
	.p2align	6, 0x0
	.amdhsa_kernel _Z6kernelI14subtract_rightLj256ELj1ELb0EJPdS1_jEEvDpT3_
		.amdhsa_group_segment_fixed_size 4096
		.amdhsa_private_segment_fixed_size 0
		.amdhsa_kernarg_size 20
		.amdhsa_user_sgpr_count 15
		.amdhsa_user_sgpr_dispatch_ptr 0
		.amdhsa_user_sgpr_queue_ptr 0
		.amdhsa_user_sgpr_kernarg_segment_ptr 1
		.amdhsa_user_sgpr_dispatch_id 0
		.amdhsa_user_sgpr_private_segment_size 0
		.amdhsa_wavefront_size32 1
		.amdhsa_uses_dynamic_stack 0
		.amdhsa_enable_private_segment 0
		.amdhsa_system_sgpr_workgroup_id_x 1
		.amdhsa_system_sgpr_workgroup_id_y 0
		.amdhsa_system_sgpr_workgroup_id_z 0
		.amdhsa_system_sgpr_workgroup_info 0
		.amdhsa_system_vgpr_workitem_id 0
		.amdhsa_next_free_vgpr 6
		.amdhsa_next_free_sgpr 16
		.amdhsa_reserve_vcc 1
		.amdhsa_float_round_mode_32 0
		.amdhsa_float_round_mode_16_64 0
		.amdhsa_float_denorm_mode_32 3
		.amdhsa_float_denorm_mode_16_64 3
		.amdhsa_dx10_clamp 1
		.amdhsa_ieee_mode 1
		.amdhsa_fp16_overflow 0
		.amdhsa_workgroup_processor_mode 1
		.amdhsa_memory_ordered 1
		.amdhsa_forward_progress 0
		.amdhsa_shared_vgpr_count 0
		.amdhsa_exception_fp_ieee_invalid_op 0
		.amdhsa_exception_fp_denorm_src 0
		.amdhsa_exception_fp_ieee_div_zero 0
		.amdhsa_exception_fp_ieee_overflow 0
		.amdhsa_exception_fp_ieee_underflow 0
		.amdhsa_exception_fp_ieee_inexact 0
		.amdhsa_exception_int_div_zero 0
	.end_amdhsa_kernel
	.section	.text._Z6kernelI14subtract_rightLj256ELj1ELb0EJPdS1_jEEvDpT3_,"axG",@progbits,_Z6kernelI14subtract_rightLj256ELj1ELb0EJPdS1_jEEvDpT3_,comdat
.Lfunc_end84:
	.size	_Z6kernelI14subtract_rightLj256ELj1ELb0EJPdS1_jEEvDpT3_, .Lfunc_end84-_Z6kernelI14subtract_rightLj256ELj1ELb0EJPdS1_jEEvDpT3_
                                        ; -- End function
	.section	.AMDGPU.csdata,"",@progbits
; Kernel info:
; codeLenInByte = 220
; NumSgprs: 18
; NumVgprs: 6
; ScratchSize: 0
; MemoryBound: 0
; FloatMode: 240
; IeeeMode: 1
; LDSByteSize: 4096 bytes/workgroup (compile time only)
; SGPRBlocks: 2
; VGPRBlocks: 0
; NumSGPRsForWavesPerEU: 18
; NumVGPRsForWavesPerEU: 6
; Occupancy: 16
; WaveLimiterHint : 0
; COMPUTE_PGM_RSRC2:SCRATCH_EN: 0
; COMPUTE_PGM_RSRC2:USER_SGPR: 15
; COMPUTE_PGM_RSRC2:TRAP_HANDLER: 0
; COMPUTE_PGM_RSRC2:TGID_X_EN: 1
; COMPUTE_PGM_RSRC2:TGID_Y_EN: 0
; COMPUTE_PGM_RSRC2:TGID_Z_EN: 0
; COMPUTE_PGM_RSRC2:TIDIG_COMP_CNT: 0
	.section	.text._Z6kernelI14subtract_rightLj256ELj3ELb0EJPdS1_jEEvDpT3_,"axG",@progbits,_Z6kernelI14subtract_rightLj256ELj3ELb0EJPdS1_jEEvDpT3_,comdat
	.protected	_Z6kernelI14subtract_rightLj256ELj3ELb0EJPdS1_jEEvDpT3_ ; -- Begin function _Z6kernelI14subtract_rightLj256ELj3ELb0EJPdS1_jEEvDpT3_
	.globl	_Z6kernelI14subtract_rightLj256ELj3ELb0EJPdS1_jEEvDpT3_
	.p2align	8
	.type	_Z6kernelI14subtract_rightLj256ELj3ELb0EJPdS1_jEEvDpT3_,@function
_Z6kernelI14subtract_rightLj256ELj3ELb0EJPdS1_jEEvDpT3_: ; @_Z6kernelI14subtract_rightLj256ELj3ELb0EJPdS1_jEEvDpT3_
; %bb.0:
	s_load_b128 s[4:7], s[0:1], 0x0
	s_mov_b32 s3, 0
	s_mul_i32 s2, s15, 0x300
	v_lshlrev_b32_e32 v9, 3, v0
	s_lshl_b64 s[2:3], s[2:3], 3
	s_load_b32 s0, s[0:1], 0x10
	s_waitcnt lgkmcnt(0)
	s_add_u32 s4, s4, s2
	s_addc_u32 s5, s5, s3
	v_add_co_u32 v1, s1, s4, v9
	s_delay_alu instid0(VALU_DEP_1) | instskip(SKIP_1) | instid1(VALU_DEP_2)
	v_add_co_ci_u32_e64 v2, null, s5, 0, s1
	s_cmp_eq_u32 s0, 0
	v_add_co_u32 v1, vcc_lo, 0x1000, v1
	s_delay_alu instid0(VALU_DEP_2)
	v_add_co_ci_u32_e32 v2, vcc_lo, 0, v2, vcc_lo
	s_clause 0x2
	global_load_b64 v[5:6], v9, s[4:5]
	global_load_b64 v[3:4], v9, s[4:5] offset:2048
	global_load_b64 v[1:2], v[1:2], off
	s_cbranch_scc1 .LBB85_5
; %bb.1:
	v_cmp_ne_u32_e32 vcc_lo, 0xff, v0
	v_or_b32_e32 v0, 0x800, v9
	s_set_inst_prefetch_distance 0x1
	s_branch .LBB85_3
	.p2align	6
.LBB85_2:                               ;   in Loop: Header=BB85_3 Depth=1
	s_or_b32 exec_lo, exec_lo, s1
	v_add_f64 v[10:11], v[5:6], -v[3:4]
	v_add_f64 v[12:13], v[3:4], -v[1:2]
	s_delay_alu instid0(VALU_DEP_3) | instskip(SKIP_1) | instid1(SALU_CYCLE_1)
	v_add_f64 v[1:2], v[1:2], v[7:8]
	s_add_i32 s0, s0, -1
	s_cmp_lg_u32 s0, 0
	s_barrier
	buffer_gl0_inv
	v_add_f64 v[5:6], v[5:6], v[10:11]
	v_add_f64 v[3:4], v[3:4], v[12:13]
	s_cbranch_scc0 .LBB85_5
.LBB85_3:                               ; =>This Inner Loop Header: Depth=1
	s_waitcnt vmcnt(0)
	v_dual_mov_b32 v8, v2 :: v_dual_mov_b32 v7, v1
	ds_store_b64 v9, v[5:6] offset:2048
	s_waitcnt lgkmcnt(0)
	s_barrier
	buffer_gl0_inv
	s_and_saveexec_b32 s1, vcc_lo
	s_cbranch_execz .LBB85_2
; %bb.4:                                ;   in Loop: Header=BB85_3 Depth=1
	ds_load_b64 v[7:8], v0 offset:8
	s_waitcnt lgkmcnt(0)
	v_add_f64 v[7:8], v[1:2], -v[7:8]
	s_branch .LBB85_2
.LBB85_5:
	s_set_inst_prefetch_distance 0x2
	s_add_u32 s0, s6, s2
	s_addc_u32 s1, s7, s3
	v_add_co_u32 v0, s2, s0, v9
	s_delay_alu instid0(VALU_DEP_1) | instskip(NEXT) | instid1(VALU_DEP_2)
	v_add_co_ci_u32_e64 v8, null, s1, 0, s2
	v_add_co_u32 v7, vcc_lo, 0x1000, v0
	s_delay_alu instid0(VALU_DEP_2)
	v_add_co_ci_u32_e32 v8, vcc_lo, 0, v8, vcc_lo
	s_waitcnt vmcnt(2)
	global_store_b64 v9, v[5:6], s[0:1]
	s_waitcnt vmcnt(1)
	global_store_b64 v9, v[3:4], s[0:1] offset:2048
	s_waitcnt vmcnt(0)
	global_store_b64 v[7:8], v[1:2], off
	s_nop 0
	s_sendmsg sendmsg(MSG_DEALLOC_VGPRS)
	s_endpgm
	.section	.rodata,"a",@progbits
	.p2align	6, 0x0
	.amdhsa_kernel _Z6kernelI14subtract_rightLj256ELj3ELb0EJPdS1_jEEvDpT3_
		.amdhsa_group_segment_fixed_size 4096
		.amdhsa_private_segment_fixed_size 0
		.amdhsa_kernarg_size 20
		.amdhsa_user_sgpr_count 15
		.amdhsa_user_sgpr_dispatch_ptr 0
		.amdhsa_user_sgpr_queue_ptr 0
		.amdhsa_user_sgpr_kernarg_segment_ptr 1
		.amdhsa_user_sgpr_dispatch_id 0
		.amdhsa_user_sgpr_private_segment_size 0
		.amdhsa_wavefront_size32 1
		.amdhsa_uses_dynamic_stack 0
		.amdhsa_enable_private_segment 0
		.amdhsa_system_sgpr_workgroup_id_x 1
		.amdhsa_system_sgpr_workgroup_id_y 0
		.amdhsa_system_sgpr_workgroup_id_z 0
		.amdhsa_system_sgpr_workgroup_info 0
		.amdhsa_system_vgpr_workitem_id 0
		.amdhsa_next_free_vgpr 14
		.amdhsa_next_free_sgpr 16
		.amdhsa_reserve_vcc 1
		.amdhsa_float_round_mode_32 0
		.amdhsa_float_round_mode_16_64 0
		.amdhsa_float_denorm_mode_32 3
		.amdhsa_float_denorm_mode_16_64 3
		.amdhsa_dx10_clamp 1
		.amdhsa_ieee_mode 1
		.amdhsa_fp16_overflow 0
		.amdhsa_workgroup_processor_mode 1
		.amdhsa_memory_ordered 1
		.amdhsa_forward_progress 0
		.amdhsa_shared_vgpr_count 0
		.amdhsa_exception_fp_ieee_invalid_op 0
		.amdhsa_exception_fp_denorm_src 0
		.amdhsa_exception_fp_ieee_div_zero 0
		.amdhsa_exception_fp_ieee_overflow 0
		.amdhsa_exception_fp_ieee_underflow 0
		.amdhsa_exception_fp_ieee_inexact 0
		.amdhsa_exception_int_div_zero 0
	.end_amdhsa_kernel
	.section	.text._Z6kernelI14subtract_rightLj256ELj3ELb0EJPdS1_jEEvDpT3_,"axG",@progbits,_Z6kernelI14subtract_rightLj256ELj3ELb0EJPdS1_jEEvDpT3_,comdat
.Lfunc_end85:
	.size	_Z6kernelI14subtract_rightLj256ELj3ELb0EJPdS1_jEEvDpT3_, .Lfunc_end85-_Z6kernelI14subtract_rightLj256ELj3ELb0EJPdS1_jEEvDpT3_
                                        ; -- End function
	.section	.AMDGPU.csdata,"",@progbits
; Kernel info:
; codeLenInByte = 388
; NumSgprs: 18
; NumVgprs: 14
; ScratchSize: 0
; MemoryBound: 0
; FloatMode: 240
; IeeeMode: 1
; LDSByteSize: 4096 bytes/workgroup (compile time only)
; SGPRBlocks: 2
; VGPRBlocks: 1
; NumSGPRsForWavesPerEU: 18
; NumVGPRsForWavesPerEU: 14
; Occupancy: 16
; WaveLimiterHint : 1
; COMPUTE_PGM_RSRC2:SCRATCH_EN: 0
; COMPUTE_PGM_RSRC2:USER_SGPR: 15
; COMPUTE_PGM_RSRC2:TRAP_HANDLER: 0
; COMPUTE_PGM_RSRC2:TGID_X_EN: 1
; COMPUTE_PGM_RSRC2:TGID_Y_EN: 0
; COMPUTE_PGM_RSRC2:TGID_Z_EN: 0
; COMPUTE_PGM_RSRC2:TIDIG_COMP_CNT: 0
	.section	.text._Z6kernelI14subtract_rightLj256ELj4ELb0EJPdS1_jEEvDpT3_,"axG",@progbits,_Z6kernelI14subtract_rightLj256ELj4ELb0EJPdS1_jEEvDpT3_,comdat
	.protected	_Z6kernelI14subtract_rightLj256ELj4ELb0EJPdS1_jEEvDpT3_ ; -- Begin function _Z6kernelI14subtract_rightLj256ELj4ELb0EJPdS1_jEEvDpT3_
	.globl	_Z6kernelI14subtract_rightLj256ELj4ELb0EJPdS1_jEEvDpT3_
	.p2align	8
	.type	_Z6kernelI14subtract_rightLj256ELj4ELb0EJPdS1_jEEvDpT3_,@function
_Z6kernelI14subtract_rightLj256ELj4ELb0EJPdS1_jEEvDpT3_: ; @_Z6kernelI14subtract_rightLj256ELj4ELb0EJPdS1_jEEvDpT3_
; %bb.0:
	s_load_b128 s[4:7], s[0:1], 0x0
	s_mov_b32 s3, 0
	s_lshl_b32 s2, s15, 10
	v_lshlrev_b32_e32 v11, 3, v0
	s_lshl_b64 s[2:3], s[2:3], 3
	s_load_b32 s0, s[0:1], 0x10
	s_waitcnt lgkmcnt(0)
	s_add_u32 s4, s4, s2
	s_addc_u32 s5, s5, s3
	v_add_co_u32 v1, s1, s4, v11
	s_delay_alu instid0(VALU_DEP_1) | instskip(SKIP_1) | instid1(VALU_DEP_2)
	v_add_co_ci_u32_e64 v2, null, s5, 0, s1
	s_cmp_eq_u32 s0, 0
	v_add_co_u32 v1, vcc_lo, 0x1000, v1
	s_delay_alu instid0(VALU_DEP_2)
	v_add_co_ci_u32_e32 v2, vcc_lo, 0, v2, vcc_lo
	s_clause 0x3
	global_load_b64 v[7:8], v11, s[4:5]
	global_load_b64 v[5:6], v11, s[4:5] offset:2048
	global_load_b64 v[3:4], v[1:2], off
	global_load_b64 v[1:2], v[1:2], off offset:2048
	s_cbranch_scc1 .LBB86_5
; %bb.1:
	v_cmp_ne_u32_e32 vcc_lo, 0xff, v0
	v_or_b32_e32 v0, 0x800, v11
	s_set_inst_prefetch_distance 0x1
	s_branch .LBB86_3
	.p2align	6
.LBB86_2:                               ;   in Loop: Header=BB86_3 Depth=1
	s_or_b32 exec_lo, exec_lo, s1
	v_add_f64 v[12:13], v[7:8], -v[5:6]
	v_add_f64 v[14:15], v[5:6], -v[3:4]
	;; [unrolled: 1-line block ×3, first 2 shown]
	s_delay_alu instid0(VALU_DEP_4) | instskip(SKIP_1) | instid1(SALU_CYCLE_1)
	v_add_f64 v[1:2], v[1:2], v[9:10]
	s_add_i32 s0, s0, -1
	s_cmp_lg_u32 s0, 0
	s_barrier
	buffer_gl0_inv
	v_add_f64 v[7:8], v[7:8], v[12:13]
	v_add_f64 v[5:6], v[5:6], v[14:15]
	;; [unrolled: 1-line block ×3, first 2 shown]
	s_cbranch_scc0 .LBB86_5
.LBB86_3:                               ; =>This Inner Loop Header: Depth=1
	s_waitcnt vmcnt(0)
	v_dual_mov_b32 v10, v2 :: v_dual_mov_b32 v9, v1
	ds_store_b64 v11, v[7:8] offset:2048
	s_waitcnt lgkmcnt(0)
	s_barrier
	buffer_gl0_inv
	s_and_saveexec_b32 s1, vcc_lo
	s_cbranch_execz .LBB86_2
; %bb.4:                                ;   in Loop: Header=BB86_3 Depth=1
	ds_load_b64 v[9:10], v0 offset:8
	s_waitcnt lgkmcnt(0)
	v_add_f64 v[9:10], v[1:2], -v[9:10]
	s_branch .LBB86_2
.LBB86_5:
	s_set_inst_prefetch_distance 0x2
	s_add_u32 s0, s6, s2
	s_addc_u32 s1, s7, s3
	v_add_co_u32 v0, s2, s0, v11
	s_delay_alu instid0(VALU_DEP_1) | instskip(NEXT) | instid1(VALU_DEP_2)
	v_add_co_ci_u32_e64 v10, null, s1, 0, s2
	v_add_co_u32 v9, vcc_lo, 0x1000, v0
	s_delay_alu instid0(VALU_DEP_2)
	v_add_co_ci_u32_e32 v10, vcc_lo, 0, v10, vcc_lo
	s_waitcnt vmcnt(3)
	global_store_b64 v11, v[7:8], s[0:1]
	s_waitcnt vmcnt(2)
	global_store_b64 v11, v[5:6], s[0:1] offset:2048
	s_waitcnt vmcnt(1)
	global_store_b64 v[9:10], v[3:4], off
	s_waitcnt vmcnt(0)
	global_store_b64 v[9:10], v[1:2], off offset:2048
	s_nop 0
	s_sendmsg sendmsg(MSG_DEALLOC_VGPRS)
	s_endpgm
	.section	.rodata,"a",@progbits
	.p2align	6, 0x0
	.amdhsa_kernel _Z6kernelI14subtract_rightLj256ELj4ELb0EJPdS1_jEEvDpT3_
		.amdhsa_group_segment_fixed_size 4096
		.amdhsa_private_segment_fixed_size 0
		.amdhsa_kernarg_size 20
		.amdhsa_user_sgpr_count 15
		.amdhsa_user_sgpr_dispatch_ptr 0
		.amdhsa_user_sgpr_queue_ptr 0
		.amdhsa_user_sgpr_kernarg_segment_ptr 1
		.amdhsa_user_sgpr_dispatch_id 0
		.amdhsa_user_sgpr_private_segment_size 0
		.amdhsa_wavefront_size32 1
		.amdhsa_uses_dynamic_stack 0
		.amdhsa_enable_private_segment 0
		.amdhsa_system_sgpr_workgroup_id_x 1
		.amdhsa_system_sgpr_workgroup_id_y 0
		.amdhsa_system_sgpr_workgroup_id_z 0
		.amdhsa_system_sgpr_workgroup_info 0
		.amdhsa_system_vgpr_workitem_id 0
		.amdhsa_next_free_vgpr 18
		.amdhsa_next_free_sgpr 16
		.amdhsa_reserve_vcc 1
		.amdhsa_float_round_mode_32 0
		.amdhsa_float_round_mode_16_64 0
		.amdhsa_float_denorm_mode_32 3
		.amdhsa_float_denorm_mode_16_64 3
		.amdhsa_dx10_clamp 1
		.amdhsa_ieee_mode 1
		.amdhsa_fp16_overflow 0
		.amdhsa_workgroup_processor_mode 1
		.amdhsa_memory_ordered 1
		.amdhsa_forward_progress 0
		.amdhsa_shared_vgpr_count 0
		.amdhsa_exception_fp_ieee_invalid_op 0
		.amdhsa_exception_fp_denorm_src 0
		.amdhsa_exception_fp_ieee_div_zero 0
		.amdhsa_exception_fp_ieee_overflow 0
		.amdhsa_exception_fp_ieee_underflow 0
		.amdhsa_exception_fp_ieee_inexact 0
		.amdhsa_exception_int_div_zero 0
	.end_amdhsa_kernel
	.section	.text._Z6kernelI14subtract_rightLj256ELj4ELb0EJPdS1_jEEvDpT3_,"axG",@progbits,_Z6kernelI14subtract_rightLj256ELj4ELb0EJPdS1_jEEvDpT3_,comdat
.Lfunc_end86:
	.size	_Z6kernelI14subtract_rightLj256ELj4ELb0EJPdS1_jEEvDpT3_, .Lfunc_end86-_Z6kernelI14subtract_rightLj256ELj4ELb0EJPdS1_jEEvDpT3_
                                        ; -- End function
	.section	.AMDGPU.csdata,"",@progbits
; Kernel info:
; codeLenInByte = 420
; NumSgprs: 18
; NumVgprs: 18
; ScratchSize: 0
; MemoryBound: 0
; FloatMode: 240
; IeeeMode: 1
; LDSByteSize: 4096 bytes/workgroup (compile time only)
; SGPRBlocks: 2
; VGPRBlocks: 2
; NumSGPRsForWavesPerEU: 18
; NumVGPRsForWavesPerEU: 18
; Occupancy: 16
; WaveLimiterHint : 1
; COMPUTE_PGM_RSRC2:SCRATCH_EN: 0
; COMPUTE_PGM_RSRC2:USER_SGPR: 15
; COMPUTE_PGM_RSRC2:TRAP_HANDLER: 0
; COMPUTE_PGM_RSRC2:TGID_X_EN: 1
; COMPUTE_PGM_RSRC2:TGID_Y_EN: 0
; COMPUTE_PGM_RSRC2:TGID_Z_EN: 0
; COMPUTE_PGM_RSRC2:TIDIG_COMP_CNT: 0
	.section	.text._Z6kernelI14subtract_rightLj256ELj8ELb0EJPdS1_jEEvDpT3_,"axG",@progbits,_Z6kernelI14subtract_rightLj256ELj8ELb0EJPdS1_jEEvDpT3_,comdat
	.protected	_Z6kernelI14subtract_rightLj256ELj8ELb0EJPdS1_jEEvDpT3_ ; -- Begin function _Z6kernelI14subtract_rightLj256ELj8ELb0EJPdS1_jEEvDpT3_
	.globl	_Z6kernelI14subtract_rightLj256ELj8ELb0EJPdS1_jEEvDpT3_
	.p2align	8
	.type	_Z6kernelI14subtract_rightLj256ELj8ELb0EJPdS1_jEEvDpT3_,@function
_Z6kernelI14subtract_rightLj256ELj8ELb0EJPdS1_jEEvDpT3_: ; @_Z6kernelI14subtract_rightLj256ELj8ELb0EJPdS1_jEEvDpT3_
; %bb.0:
	s_load_b128 s[4:7], s[0:1], 0x0
	s_mov_b32 s3, 0
	s_lshl_b32 s2, s15, 11
	v_lshlrev_b32_e32 v19, 3, v0
	s_lshl_b64 s[2:3], s[2:3], 3
	s_load_b32 s0, s[0:1], 0x10
	s_waitcnt lgkmcnt(0)
	s_add_u32 s4, s4, s2
	s_addc_u32 s5, s5, s3
	v_add_co_u32 v5, s1, s4, v19
	s_delay_alu instid0(VALU_DEP_1) | instskip(SKIP_1) | instid1(VALU_DEP_2)
	v_add_co_ci_u32_e64 v6, null, s5, 0, s1
	s_cmp_eq_u32 s0, 0
	v_add_co_u32 v1, vcc_lo, 0x1000, v5
	s_delay_alu instid0(VALU_DEP_2)
	v_add_co_ci_u32_e32 v2, vcc_lo, 0, v6, vcc_lo
	v_add_co_u32 v9, vcc_lo, v5, 0x2000
	v_add_co_ci_u32_e32 v10, vcc_lo, 0, v6, vcc_lo
	v_add_co_u32 v3, vcc_lo, 0x2000, v5
	;; [unrolled: 2-line block ×3, first 2 shown]
	v_add_co_ci_u32_e32 v18, vcc_lo, 0, v6, vcc_lo
	s_clause 0x7
	global_load_b64 v[15:16], v[9:10], off
	global_load_b64 v[13:14], v19, s[4:5]
	global_load_b64 v[11:12], v19, s[4:5] offset:2048
	global_load_b64 v[7:8], v[1:2], off offset:2048
	global_load_b64 v[5:6], v[3:4], off offset:2048
	global_load_b64 v[3:4], v[17:18], off
	global_load_b64 v[9:10], v[9:10], off offset:-4096
	global_load_b64 v[1:2], v[17:18], off offset:2048
	s_cbranch_scc1 .LBB87_5
; %bb.1:
	v_cmp_ne_u32_e32 vcc_lo, 0xff, v0
	v_or_b32_e32 v0, 0x800, v19
	s_set_inst_prefetch_distance 0x1
	s_branch .LBB87_3
	.p2align	6
.LBB87_2:                               ;   in Loop: Header=BB87_3 Depth=1
	s_or_b32 exec_lo, exec_lo, s1
	v_add_f64 v[20:21], v[13:14], -v[11:12]
	v_add_f64 v[22:23], v[11:12], -v[9:10]
	;; [unrolled: 1-line block ×7, first 2 shown]
	v_add_f64 v[1:2], v[1:2], v[17:18]
	s_add_i32 s0, s0, -1
	s_delay_alu instid0(SALU_CYCLE_1)
	s_cmp_lg_u32 s0, 0
	s_barrier
	buffer_gl0_inv
	v_add_f64 v[13:14], v[13:14], v[20:21]
	v_add_f64 v[11:12], v[11:12], v[22:23]
	;; [unrolled: 1-line block ×7, first 2 shown]
	s_cbranch_scc0 .LBB87_5
.LBB87_3:                               ; =>This Inner Loop Header: Depth=1
	s_waitcnt vmcnt(0)
	v_dual_mov_b32 v18, v2 :: v_dual_mov_b32 v17, v1
	ds_store_b64 v19, v[13:14] offset:2048
	s_waitcnt lgkmcnt(0)
	s_barrier
	buffer_gl0_inv
	s_and_saveexec_b32 s1, vcc_lo
	s_cbranch_execz .LBB87_2
; %bb.4:                                ;   in Loop: Header=BB87_3 Depth=1
	ds_load_b64 v[17:18], v0 offset:8
	s_waitcnt lgkmcnt(0)
	v_add_f64 v[17:18], v[1:2], -v[17:18]
	s_branch .LBB87_2
.LBB87_5:
	s_set_inst_prefetch_distance 0x2
	s_add_u32 s0, s6, s2
	s_addc_u32 s1, s7, s3
	v_add_co_u32 v0, s2, s0, v19
	s_delay_alu instid0(VALU_DEP_1) | instskip(NEXT) | instid1(VALU_DEP_2)
	v_add_co_ci_u32_e64 v24, null, s1, 0, s2
	v_add_co_u32 v17, vcc_lo, 0x1000, v0
	s_delay_alu instid0(VALU_DEP_2)
	v_add_co_ci_u32_e32 v18, vcc_lo, 0, v24, vcc_lo
	v_add_co_u32 v20, vcc_lo, v0, 0x2000
	v_add_co_ci_u32_e32 v21, vcc_lo, 0, v24, vcc_lo
	v_add_co_u32 v22, vcc_lo, 0x2000, v0
	v_add_co_ci_u32_e32 v23, vcc_lo, 0, v24, vcc_lo
	s_waitcnt vmcnt(7)
	global_store_b64 v[20:21], v[15:16], off
	v_add_co_u32 v15, vcc_lo, 0x3000, v0
	v_add_co_ci_u32_e32 v16, vcc_lo, 0, v24, vcc_lo
	s_waitcnt vmcnt(6)
	global_store_b64 v19, v[13:14], s[0:1]
	s_waitcnt vmcnt(5)
	global_store_b64 v19, v[11:12], s[0:1] offset:2048
	s_waitcnt vmcnt(4)
	global_store_b64 v[17:18], v[7:8], off offset:2048
	s_waitcnt vmcnt(3)
	global_store_b64 v[22:23], v[5:6], off offset:2048
	s_waitcnt vmcnt(2)
	global_store_b64 v[15:16], v[3:4], off
	s_waitcnt vmcnt(1)
	global_store_b64 v[20:21], v[9:10], off offset:-4096
	s_waitcnt vmcnt(0)
	global_store_b64 v[15:16], v[1:2], off offset:2048
	s_nop 0
	s_sendmsg sendmsg(MSG_DEALLOC_VGPRS)
	s_endpgm
	.section	.rodata,"a",@progbits
	.p2align	6, 0x0
	.amdhsa_kernel _Z6kernelI14subtract_rightLj256ELj8ELb0EJPdS1_jEEvDpT3_
		.amdhsa_group_segment_fixed_size 4096
		.amdhsa_private_segment_fixed_size 0
		.amdhsa_kernarg_size 20
		.amdhsa_user_sgpr_count 15
		.amdhsa_user_sgpr_dispatch_ptr 0
		.amdhsa_user_sgpr_queue_ptr 0
		.amdhsa_user_sgpr_kernarg_segment_ptr 1
		.amdhsa_user_sgpr_dispatch_id 0
		.amdhsa_user_sgpr_private_segment_size 0
		.amdhsa_wavefront_size32 1
		.amdhsa_uses_dynamic_stack 0
		.amdhsa_enable_private_segment 0
		.amdhsa_system_sgpr_workgroup_id_x 1
		.amdhsa_system_sgpr_workgroup_id_y 0
		.amdhsa_system_sgpr_workgroup_id_z 0
		.amdhsa_system_sgpr_workgroup_info 0
		.amdhsa_system_vgpr_workitem_id 0
		.amdhsa_next_free_vgpr 34
		.amdhsa_next_free_sgpr 16
		.amdhsa_reserve_vcc 1
		.amdhsa_float_round_mode_32 0
		.amdhsa_float_round_mode_16_64 0
		.amdhsa_float_denorm_mode_32 3
		.amdhsa_float_denorm_mode_16_64 3
		.amdhsa_dx10_clamp 1
		.amdhsa_ieee_mode 1
		.amdhsa_fp16_overflow 0
		.amdhsa_workgroup_processor_mode 1
		.amdhsa_memory_ordered 1
		.amdhsa_forward_progress 0
		.amdhsa_shared_vgpr_count 0
		.amdhsa_exception_fp_ieee_invalid_op 0
		.amdhsa_exception_fp_denorm_src 0
		.amdhsa_exception_fp_ieee_div_zero 0
		.amdhsa_exception_fp_ieee_overflow 0
		.amdhsa_exception_fp_ieee_underflow 0
		.amdhsa_exception_fp_ieee_inexact 0
		.amdhsa_exception_int_div_zero 0
	.end_amdhsa_kernel
	.section	.text._Z6kernelI14subtract_rightLj256ELj8ELb0EJPdS1_jEEvDpT3_,"axG",@progbits,_Z6kernelI14subtract_rightLj256ELj8ELb0EJPdS1_jEEvDpT3_,comdat
.Lfunc_end87:
	.size	_Z6kernelI14subtract_rightLj256ELj8ELb0EJPdS1_jEEvDpT3_, .Lfunc_end87-_Z6kernelI14subtract_rightLj256ELj8ELb0EJPdS1_jEEvDpT3_
                                        ; -- End function
	.section	.AMDGPU.csdata,"",@progbits
; Kernel info:
; codeLenInByte = 660
; NumSgprs: 18
; NumVgprs: 34
; ScratchSize: 0
; MemoryBound: 0
; FloatMode: 240
; IeeeMode: 1
; LDSByteSize: 4096 bytes/workgroup (compile time only)
; SGPRBlocks: 2
; VGPRBlocks: 4
; NumSGPRsForWavesPerEU: 18
; NumVGPRsForWavesPerEU: 34
; Occupancy: 16
; WaveLimiterHint : 1
; COMPUTE_PGM_RSRC2:SCRATCH_EN: 0
; COMPUTE_PGM_RSRC2:USER_SGPR: 15
; COMPUTE_PGM_RSRC2:TRAP_HANDLER: 0
; COMPUTE_PGM_RSRC2:TGID_X_EN: 1
; COMPUTE_PGM_RSRC2:TGID_Y_EN: 0
; COMPUTE_PGM_RSRC2:TGID_Z_EN: 0
; COMPUTE_PGM_RSRC2:TIDIG_COMP_CNT: 0
	.section	.text._Z6kernelI14subtract_rightLj256ELj16ELb0EJPdS1_jEEvDpT3_,"axG",@progbits,_Z6kernelI14subtract_rightLj256ELj16ELb0EJPdS1_jEEvDpT3_,comdat
	.protected	_Z6kernelI14subtract_rightLj256ELj16ELb0EJPdS1_jEEvDpT3_ ; -- Begin function _Z6kernelI14subtract_rightLj256ELj16ELb0EJPdS1_jEEvDpT3_
	.globl	_Z6kernelI14subtract_rightLj256ELj16ELb0EJPdS1_jEEvDpT3_
	.p2align	8
	.type	_Z6kernelI14subtract_rightLj256ELj16ELb0EJPdS1_jEEvDpT3_,@function
_Z6kernelI14subtract_rightLj256ELj16ELb0EJPdS1_jEEvDpT3_: ; @_Z6kernelI14subtract_rightLj256ELj16ELb0EJPdS1_jEEvDpT3_
; %bb.0:
	s_load_b128 s[4:7], s[0:1], 0x0
	s_mov_b32 s3, 0
	s_lshl_b32 s2, s15, 12
	v_lshlrev_b32_e32 v35, 3, v0
	s_lshl_b64 s[2:3], s[2:3], 3
	s_load_b32 s0, s[0:1], 0x10
	s_waitcnt lgkmcnt(0)
	s_add_u32 s4, s4, s2
	s_addc_u32 s5, s5, s3
	v_add_co_u32 v13, s1, s4, v35
	s_delay_alu instid0(VALU_DEP_1) | instskip(SKIP_1) | instid1(VALU_DEP_2)
	v_add_co_ci_u32_e64 v14, null, s5, 0, s1
	s_cmp_eq_u32 s0, 0
	v_add_co_u32 v1, vcc_lo, 0x1000, v13
	s_delay_alu instid0(VALU_DEP_2)
	v_add_co_ci_u32_e32 v2, vcc_lo, 0, v14, vcc_lo
	v_add_co_u32 v21, vcc_lo, v13, 0x2000
	v_add_co_ci_u32_e32 v22, vcc_lo, 0, v14, vcc_lo
	v_add_co_u32 v3, vcc_lo, 0x2000, v13
	;; [unrolled: 2-line block ×3, first 2 shown]
	v_add_co_ci_u32_e32 v6, vcc_lo, 0, v14, vcc_lo
	s_clause 0x4
	global_load_b64 v[25:26], v[21:22], off
	global_load_b64 v[31:32], v35, s[4:5]
	global_load_b64 v[29:30], v35, s[4:5] offset:2048
	global_load_b64 v[27:28], v[1:2], off offset:2048
	global_load_b64 v[23:24], v[3:4], off offset:2048
	v_add_co_u32 v1, vcc_lo, v13, 0x4000
	v_add_co_ci_u32_e32 v2, vcc_lo, 0, v14, vcc_lo
	v_add_co_u32 v3, vcc_lo, 0x4000, v13
	v_add_co_ci_u32_e32 v4, vcc_lo, 0, v14, vcc_lo
	;; [unrolled: 2-line block ×5, first 2 shown]
	s_clause 0x3
	global_load_b64 v[19:20], v[1:2], off offset:-4096
	global_load_b64 v[15:16], v[1:2], off
	global_load_b64 v[11:12], v[7:8], off offset:-4096
	global_load_b64 v[7:8], v[7:8], off
	v_add_co_u32 v1, vcc_lo, 0x7000, v13
	v_add_co_ci_u32_e32 v2, vcc_lo, 0, v14, vcc_lo
	s_clause 0x6
	global_load_b64 v[17:18], v[5:6], off offset:2048
	global_load_b64 v[13:14], v[3:4], off offset:2048
	;; [unrolled: 1-line block ×4, first 2 shown]
	global_load_b64 v[3:4], v[1:2], off
	global_load_b64 v[21:22], v[21:22], off offset:-4096
	global_load_b64 v[1:2], v[1:2], off offset:2048
	s_cbranch_scc1 .LBB88_5
; %bb.1:
	v_cmp_ne_u32_e32 vcc_lo, 0xff, v0
	v_or_b32_e32 v0, 0x800, v35
	s_branch .LBB88_3
.LBB88_2:                               ;   in Loop: Header=BB88_3 Depth=1
	s_or_b32 exec_lo, exec_lo, s1
	v_add_f64 v[36:37], v[31:32], -v[29:30]
	v_add_f64 v[38:39], v[29:30], -v[21:22]
	;; [unrolled: 1-line block ×15, first 2 shown]
	v_add_f64 v[1:2], v[1:2], v[33:34]
	s_add_i32 s0, s0, -1
	s_delay_alu instid0(SALU_CYCLE_1)
	s_cmp_lg_u32 s0, 0
	s_barrier
	buffer_gl0_inv
	v_add_f64 v[31:32], v[31:32], v[36:37]
	v_add_f64 v[29:30], v[29:30], v[38:39]
	;; [unrolled: 1-line block ×15, first 2 shown]
	s_cbranch_scc0 .LBB88_5
.LBB88_3:                               ; =>This Inner Loop Header: Depth=1
	s_waitcnt vmcnt(0)
	v_dual_mov_b32 v34, v2 :: v_dual_mov_b32 v33, v1
	ds_store_b64 v35, v[31:32] offset:2048
	s_waitcnt lgkmcnt(0)
	s_barrier
	buffer_gl0_inv
	s_and_saveexec_b32 s1, vcc_lo
	s_cbranch_execz .LBB88_2
; %bb.4:                                ;   in Loop: Header=BB88_3 Depth=1
	ds_load_b64 v[33:34], v0 offset:8
	s_waitcnt lgkmcnt(0)
	v_add_f64 v[33:34], v[1:2], -v[33:34]
	s_branch .LBB88_2
.LBB88_5:
	s_add_u32 s0, s6, s2
	s_addc_u32 s1, s7, s3
	v_add_co_u32 v0, s2, s0, v35
	s_delay_alu instid0(VALU_DEP_1) | instskip(NEXT) | instid1(VALU_DEP_2)
	v_add_co_ci_u32_e64 v40, null, s1, 0, s2
	v_add_co_u32 v33, vcc_lo, 0x1000, v0
	s_delay_alu instid0(VALU_DEP_2)
	v_add_co_ci_u32_e32 v34, vcc_lo, 0, v40, vcc_lo
	v_add_co_u32 v36, vcc_lo, v0, 0x2000
	v_add_co_ci_u32_e32 v37, vcc_lo, 0, v40, vcc_lo
	v_add_co_u32 v38, vcc_lo, 0x2000, v0
	v_add_co_ci_u32_e32 v39, vcc_lo, 0, v40, vcc_lo
	s_waitcnt vmcnt(15)
	global_store_b64 v[36:37], v[25:26], off
	s_waitcnt vmcnt(14)
	global_store_b64 v35, v[31:32], s[0:1]
	s_waitcnt vmcnt(13)
	global_store_b64 v35, v[29:30], s[0:1] offset:2048
	s_waitcnt vmcnt(12)
	global_store_b64 v[33:34], v[27:28], off offset:2048
	s_waitcnt vmcnt(11)
	global_store_b64 v[38:39], v[23:24], off offset:2048
	v_add_co_u32 v23, vcc_lo, 0x3000, v0
	v_add_co_ci_u32_e32 v24, vcc_lo, 0, v40, vcc_lo
	v_add_co_u32 v25, vcc_lo, v0, 0x4000
	v_add_co_ci_u32_e32 v26, vcc_lo, 0, v40, vcc_lo
	;; [unrolled: 2-line block ×6, first 2 shown]
	s_waitcnt vmcnt(10)
	global_store_b64 v[25:26], v[19:20], off offset:-4096
	s_waitcnt vmcnt(9)
	global_store_b64 v[25:26], v[15:16], off
	s_waitcnt vmcnt(8)
	global_store_b64 v[31:32], v[11:12], off offset:-4096
	s_waitcnt vmcnt(7)
	global_store_b64 v[31:32], v[7:8], off
	v_add_co_u32 v7, vcc_lo, 0x7000, v0
	v_add_co_ci_u32_e32 v8, vcc_lo, 0, v40, vcc_lo
	s_waitcnt vmcnt(6)
	global_store_b64 v[23:24], v[17:18], off offset:2048
	s_waitcnt vmcnt(5)
	global_store_b64 v[27:28], v[13:14], off offset:2048
	;; [unrolled: 2-line block ×4, first 2 shown]
	s_waitcnt vmcnt(2)
	global_store_b64 v[7:8], v[3:4], off
	s_waitcnt vmcnt(1)
	global_store_b64 v[36:37], v[21:22], off offset:-4096
	s_waitcnt vmcnt(0)
	global_store_b64 v[7:8], v[1:2], off offset:2048
	s_nop 0
	s_sendmsg sendmsg(MSG_DEALLOC_VGPRS)
	s_endpgm
	.section	.rodata,"a",@progbits
	.p2align	6, 0x0
	.amdhsa_kernel _Z6kernelI14subtract_rightLj256ELj16ELb0EJPdS1_jEEvDpT3_
		.amdhsa_group_segment_fixed_size 4096
		.amdhsa_private_segment_fixed_size 0
		.amdhsa_kernarg_size 20
		.amdhsa_user_sgpr_count 15
		.amdhsa_user_sgpr_dispatch_ptr 0
		.amdhsa_user_sgpr_queue_ptr 0
		.amdhsa_user_sgpr_kernarg_segment_ptr 1
		.amdhsa_user_sgpr_dispatch_id 0
		.amdhsa_user_sgpr_private_segment_size 0
		.amdhsa_wavefront_size32 1
		.amdhsa_uses_dynamic_stack 0
		.amdhsa_enable_private_segment 0
		.amdhsa_system_sgpr_workgroup_id_x 1
		.amdhsa_system_sgpr_workgroup_id_y 0
		.amdhsa_system_sgpr_workgroup_id_z 0
		.amdhsa_system_sgpr_workgroup_info 0
		.amdhsa_system_vgpr_workitem_id 0
		.amdhsa_next_free_vgpr 66
		.amdhsa_next_free_sgpr 16
		.amdhsa_reserve_vcc 1
		.amdhsa_float_round_mode_32 0
		.amdhsa_float_round_mode_16_64 0
		.amdhsa_float_denorm_mode_32 3
		.amdhsa_float_denorm_mode_16_64 3
		.amdhsa_dx10_clamp 1
		.amdhsa_ieee_mode 1
		.amdhsa_fp16_overflow 0
		.amdhsa_workgroup_processor_mode 1
		.amdhsa_memory_ordered 1
		.amdhsa_forward_progress 0
		.amdhsa_shared_vgpr_count 0
		.amdhsa_exception_fp_ieee_invalid_op 0
		.amdhsa_exception_fp_denorm_src 0
		.amdhsa_exception_fp_ieee_div_zero 0
		.amdhsa_exception_fp_ieee_overflow 0
		.amdhsa_exception_fp_ieee_underflow 0
		.amdhsa_exception_fp_ieee_inexact 0
		.amdhsa_exception_int_div_zero 0
	.end_amdhsa_kernel
	.section	.text._Z6kernelI14subtract_rightLj256ELj16ELb0EJPdS1_jEEvDpT3_,"axG",@progbits,_Z6kernelI14subtract_rightLj256ELj16ELb0EJPdS1_jEEvDpT3_,comdat
.Lfunc_end88:
	.size	_Z6kernelI14subtract_rightLj256ELj16ELb0EJPdS1_jEEvDpT3_, .Lfunc_end88-_Z6kernelI14subtract_rightLj256ELj16ELb0EJPdS1_jEEvDpT3_
                                        ; -- End function
	.section	.AMDGPU.csdata,"",@progbits
; Kernel info:
; codeLenInByte = 1140
; NumSgprs: 18
; NumVgprs: 66
; ScratchSize: 0
; MemoryBound: 0
; FloatMode: 240
; IeeeMode: 1
; LDSByteSize: 4096 bytes/workgroup (compile time only)
; SGPRBlocks: 2
; VGPRBlocks: 8
; NumSGPRsForWavesPerEU: 18
; NumVGPRsForWavesPerEU: 66
; Occupancy: 16
; WaveLimiterHint : 1
; COMPUTE_PGM_RSRC2:SCRATCH_EN: 0
; COMPUTE_PGM_RSRC2:USER_SGPR: 15
; COMPUTE_PGM_RSRC2:TRAP_HANDLER: 0
; COMPUTE_PGM_RSRC2:TGID_X_EN: 1
; COMPUTE_PGM_RSRC2:TGID_Y_EN: 0
; COMPUTE_PGM_RSRC2:TGID_Z_EN: 0
; COMPUTE_PGM_RSRC2:TIDIG_COMP_CNT: 0
	.section	.text._Z6kernelI14subtract_rightLj256ELj32ELb0EJPdS1_jEEvDpT3_,"axG",@progbits,_Z6kernelI14subtract_rightLj256ELj32ELb0EJPdS1_jEEvDpT3_,comdat
	.protected	_Z6kernelI14subtract_rightLj256ELj32ELb0EJPdS1_jEEvDpT3_ ; -- Begin function _Z6kernelI14subtract_rightLj256ELj32ELb0EJPdS1_jEEvDpT3_
	.globl	_Z6kernelI14subtract_rightLj256ELj32ELb0EJPdS1_jEEvDpT3_
	.p2align	8
	.type	_Z6kernelI14subtract_rightLj256ELj32ELb0EJPdS1_jEEvDpT3_,@function
_Z6kernelI14subtract_rightLj256ELj32ELb0EJPdS1_jEEvDpT3_: ; @_Z6kernelI14subtract_rightLj256ELj32ELb0EJPdS1_jEEvDpT3_
; %bb.0:
	s_load_b128 s[4:7], s[0:1], 0x0
	s_mov_b32 s3, 0
	s_lshl_b32 s2, s15, 13
	v_lshlrev_b32_e32 v67, 3, v0
	s_lshl_b64 s[2:3], s[2:3], 3
	s_load_b32 s0, s[0:1], 0x10
	s_waitcnt lgkmcnt(0)
	s_add_u32 s4, s4, s2
	s_addc_u32 s5, s5, s3
	v_add_co_u32 v13, s1, s4, v67
	s_delay_alu instid0(VALU_DEP_1) | instskip(SKIP_1) | instid1(VALU_DEP_2)
	v_add_co_ci_u32_e64 v14, null, s5, 0, s1
	s_cmp_eq_u32 s0, 0
	v_add_co_u32 v1, vcc_lo, 0x1000, v13
	s_delay_alu instid0(VALU_DEP_2)
	v_add_co_ci_u32_e32 v2, vcc_lo, 0, v14, vcc_lo
	v_add_co_u32 v53, vcc_lo, v13, 0x2000
	v_add_co_ci_u32_e32 v54, vcc_lo, 0, v14, vcc_lo
	v_add_co_u32 v3, vcc_lo, 0x2000, v13
	;; [unrolled: 2-line block ×3, first 2 shown]
	v_add_co_ci_u32_e32 v6, vcc_lo, 0, v14, vcc_lo
	s_clause 0x4
	global_load_b64 v[57:58], v[53:54], off
	global_load_b64 v[63:64], v67, s[4:5]
	global_load_b64 v[61:62], v67, s[4:5] offset:2048
	global_load_b64 v[59:60], v[1:2], off offset:2048
	global_load_b64 v[55:56], v[3:4], off offset:2048
	v_add_co_u32 v1, vcc_lo, v13, 0x4000
	v_add_co_ci_u32_e32 v2, vcc_lo, 0, v14, vcc_lo
	v_add_co_u32 v3, vcc_lo, 0x4000, v13
	v_add_co_ci_u32_e32 v4, vcc_lo, 0, v14, vcc_lo
	;; [unrolled: 2-line block ×5, first 2 shown]
	s_clause 0x7
	global_load_b64 v[51:52], v[1:2], off offset:-4096
	global_load_b64 v[47:48], v[1:2], off
	global_load_b64 v[43:44], v[9:10], off offset:-4096
	global_load_b64 v[39:40], v[9:10], off
	global_load_b64 v[49:50], v[5:6], off offset:2048
	global_load_b64 v[45:46], v[3:4], off offset:2048
	global_load_b64 v[41:42], v[7:8], off offset:2048
	global_load_b64 v[37:38], v[11:12], off offset:2048
	v_add_co_u32 v1, vcc_lo, 0x7000, v13
	v_add_co_ci_u32_e32 v2, vcc_lo, 0, v14, vcc_lo
	v_add_co_u32 v3, vcc_lo, v13, 0x8000
	v_add_co_ci_u32_e32 v4, vcc_lo, 0, v14, vcc_lo
	;; [unrolled: 2-line block ×6, first 2 shown]
	s_clause 0x7
	global_load_b64 v[35:36], v[3:4], off offset:-4096
	global_load_b64 v[31:32], v[3:4], off
	global_load_b64 v[27:28], v[9:10], off offset:-4096
	global_load_b64 v[23:24], v[9:10], off
	global_load_b64 v[33:34], v[1:2], off offset:2048
	global_load_b64 v[29:30], v[5:6], off offset:2048
	;; [unrolled: 1-line block ×4, first 2 shown]
	v_add_co_u32 v1, vcc_lo, 0xb000, v13
	v_add_co_ci_u32_e32 v2, vcc_lo, 0, v14, vcc_lo
	v_add_co_u32 v3, vcc_lo, v13, 0xc000
	v_add_co_ci_u32_e32 v4, vcc_lo, 0, v14, vcc_lo
	;; [unrolled: 2-line block ×7, first 2 shown]
	s_clause 0xa
	global_load_b64 v[19:20], v[3:4], off offset:-4096
	global_load_b64 v[15:16], v[3:4], off
	global_load_b64 v[11:12], v[7:8], off offset:-4096
	global_load_b64 v[7:8], v[7:8], off
	global_load_b64 v[17:18], v[1:2], off offset:2048
	global_load_b64 v[13:14], v[5:6], off offset:2048
	;; [unrolled: 1-line block ×4, first 2 shown]
	global_load_b64 v[3:4], v[68:69], off
	global_load_b64 v[53:54], v[53:54], off offset:-4096
	global_load_b64 v[1:2], v[68:69], off offset:2048
	s_cbranch_scc1 .LBB89_5
; %bb.1:
	v_cmp_ne_u32_e32 vcc_lo, 0xff, v0
	v_or_b32_e32 v0, 0x800, v67
	s_branch .LBB89_3
.LBB89_2:                               ;   in Loop: Header=BB89_3 Depth=1
	s_or_b32 exec_lo, exec_lo, s1
	v_add_f64 v[68:69], v[63:64], -v[61:62]
	v_add_f64 v[70:71], v[61:62], -v[53:54]
	;; [unrolled: 1-line block ×13, first 2 shown]
	s_add_i32 s0, s0, -1
	s_delay_alu instid0(SALU_CYCLE_1)
	s_cmp_lg_u32 s0, 0
	s_barrier
	buffer_gl0_inv
	v_add_f64 v[63:64], v[63:64], v[68:69]
	v_add_f64 v[68:69], v[37:38], -v[35:36]
	v_add_f64 v[61:62], v[61:62], v[70:71]
	v_add_f64 v[70:71], v[35:36], -v[33:34]
	;; [unrolled: 2-line block ×18, first 2 shown]
	v_add_f64 v[27:28], v[27:28], v[78:79]
	v_add_f64 v[1:2], v[1:2], v[65:66]
	;; [unrolled: 1-line block ×14, first 2 shown]
	s_cbranch_scc0 .LBB89_5
.LBB89_3:                               ; =>This Inner Loop Header: Depth=1
	s_waitcnt vmcnt(0)
	v_dual_mov_b32 v66, v2 :: v_dual_mov_b32 v65, v1
	ds_store_b64 v67, v[63:64] offset:2048
	s_waitcnt lgkmcnt(0)
	s_barrier
	buffer_gl0_inv
	s_and_saveexec_b32 s1, vcc_lo
	s_cbranch_execz .LBB89_2
; %bb.4:                                ;   in Loop: Header=BB89_3 Depth=1
	ds_load_b64 v[65:66], v0 offset:8
	s_waitcnt lgkmcnt(0)
	v_add_f64 v[65:66], v[1:2], -v[65:66]
	s_branch .LBB89_2
.LBB89_5:
	s_add_u32 s0, s6, s2
	s_addc_u32 s1, s7, s3
	v_add_co_u32 v0, s2, s0, v67
	s_delay_alu instid0(VALU_DEP_1) | instskip(NEXT) | instid1(VALU_DEP_2)
	v_add_co_ci_u32_e64 v72, null, s1, 0, s2
	v_add_co_u32 v65, vcc_lo, 0x1000, v0
	s_delay_alu instid0(VALU_DEP_2)
	v_add_co_ci_u32_e32 v66, vcc_lo, 0, v72, vcc_lo
	v_add_co_u32 v68, vcc_lo, v0, 0x2000
	v_add_co_ci_u32_e32 v69, vcc_lo, 0, v72, vcc_lo
	v_add_co_u32 v70, vcc_lo, 0x2000, v0
	v_add_co_ci_u32_e32 v71, vcc_lo, 0, v72, vcc_lo
	s_waitcnt vmcnt(31)
	global_store_b64 v[68:69], v[57:58], off
	s_waitcnt vmcnt(30)
	global_store_b64 v67, v[63:64], s[0:1]
	s_waitcnt vmcnt(29)
	global_store_b64 v67, v[61:62], s[0:1] offset:2048
	s_waitcnt vmcnt(28)
	global_store_b64 v[65:66], v[59:60], off offset:2048
	s_waitcnt vmcnt(27)
	global_store_b64 v[70:71], v[55:56], off offset:2048
	v_add_co_u32 v55, vcc_lo, 0x3000, v0
	v_add_co_ci_u32_e32 v56, vcc_lo, 0, v72, vcc_lo
	v_add_co_u32 v57, vcc_lo, v0, 0x4000
	v_add_co_ci_u32_e32 v58, vcc_lo, 0, v72, vcc_lo
	;; [unrolled: 2-line block ×6, first 2 shown]
	s_waitcnt vmcnt(26)
	global_store_b64 v[57:58], v[51:52], off offset:-4096
	s_waitcnt vmcnt(25)
	global_store_b64 v[57:58], v[47:48], off
	s_waitcnt vmcnt(24)
	global_store_b64 v[63:64], v[43:44], off offset:-4096
	s_waitcnt vmcnt(23)
	global_store_b64 v[63:64], v[39:40], off
	s_waitcnt vmcnt(22)
	global_store_b64 v[55:56], v[49:50], off offset:2048
	s_waitcnt vmcnt(21)
	global_store_b64 v[59:60], v[45:46], off offset:2048
	;; [unrolled: 2-line block ×4, first 2 shown]
	v_add_co_u32 v37, vcc_lo, 0x7000, v0
	v_add_co_ci_u32_e32 v38, vcc_lo, 0, v72, vcc_lo
	v_add_co_u32 v39, vcc_lo, v0, 0x8000
	v_add_co_ci_u32_e32 v40, vcc_lo, 0, v72, vcc_lo
	;; [unrolled: 2-line block ×6, first 2 shown]
	s_waitcnt vmcnt(18)
	global_store_b64 v[39:40], v[35:36], off offset:-4096
	s_waitcnt vmcnt(17)
	global_store_b64 v[39:40], v[31:32], off
	s_waitcnt vmcnt(16)
	global_store_b64 v[45:46], v[27:28], off offset:-4096
	s_waitcnt vmcnt(15)
	global_store_b64 v[45:46], v[23:24], off
	s_waitcnt vmcnt(14)
	global_store_b64 v[37:38], v[33:34], off offset:2048
	s_waitcnt vmcnt(13)
	global_store_b64 v[41:42], v[29:30], off offset:2048
	;; [unrolled: 2-line block ×4, first 2 shown]
	v_add_co_u32 v21, vcc_lo, 0xb000, v0
	v_add_co_ci_u32_e32 v22, vcc_lo, 0, v72, vcc_lo
	v_add_co_u32 v23, vcc_lo, v0, 0xc000
	v_add_co_ci_u32_e32 v24, vcc_lo, 0, v72, vcc_lo
	;; [unrolled: 2-line block ×6, first 2 shown]
	s_waitcnt vmcnt(10)
	global_store_b64 v[23:24], v[19:20], off offset:-4096
	s_waitcnt vmcnt(9)
	global_store_b64 v[23:24], v[15:16], off
	s_waitcnt vmcnt(8)
	global_store_b64 v[29:30], v[11:12], off offset:-4096
	s_waitcnt vmcnt(7)
	global_store_b64 v[29:30], v[7:8], off
	v_add_co_u32 v7, vcc_lo, 0xf000, v0
	v_add_co_ci_u32_e32 v8, vcc_lo, 0, v72, vcc_lo
	s_waitcnt vmcnt(6)
	global_store_b64 v[21:22], v[17:18], off offset:2048
	s_waitcnt vmcnt(5)
	global_store_b64 v[25:26], v[13:14], off offset:2048
	;; [unrolled: 2-line block ×4, first 2 shown]
	s_waitcnt vmcnt(2)
	global_store_b64 v[7:8], v[3:4], off
	s_waitcnt vmcnt(1)
	global_store_b64 v[68:69], v[53:54], off offset:-4096
	s_waitcnt vmcnt(0)
	global_store_b64 v[7:8], v[1:2], off offset:2048
	s_nop 0
	s_sendmsg sendmsg(MSG_DEALLOC_VGPRS)
	s_endpgm
	.section	.rodata,"a",@progbits
	.p2align	6, 0x0
	.amdhsa_kernel _Z6kernelI14subtract_rightLj256ELj32ELb0EJPdS1_jEEvDpT3_
		.amdhsa_group_segment_fixed_size 4096
		.amdhsa_private_segment_fixed_size 0
		.amdhsa_kernarg_size 20
		.amdhsa_user_sgpr_count 15
		.amdhsa_user_sgpr_dispatch_ptr 0
		.amdhsa_user_sgpr_queue_ptr 0
		.amdhsa_user_sgpr_kernarg_segment_ptr 1
		.amdhsa_user_sgpr_dispatch_id 0
		.amdhsa_user_sgpr_private_segment_size 0
		.amdhsa_wavefront_size32 1
		.amdhsa_uses_dynamic_stack 0
		.amdhsa_enable_private_segment 0
		.amdhsa_system_sgpr_workgroup_id_x 1
		.amdhsa_system_sgpr_workgroup_id_y 0
		.amdhsa_system_sgpr_workgroup_id_z 0
		.amdhsa_system_sgpr_workgroup_info 0
		.amdhsa_system_vgpr_workitem_id 0
		.amdhsa_next_free_vgpr 94
		.amdhsa_next_free_sgpr 16
		.amdhsa_reserve_vcc 1
		.amdhsa_float_round_mode_32 0
		.amdhsa_float_round_mode_16_64 0
		.amdhsa_float_denorm_mode_32 3
		.amdhsa_float_denorm_mode_16_64 3
		.amdhsa_dx10_clamp 1
		.amdhsa_ieee_mode 1
		.amdhsa_fp16_overflow 0
		.amdhsa_workgroup_processor_mode 1
		.amdhsa_memory_ordered 1
		.amdhsa_forward_progress 0
		.amdhsa_shared_vgpr_count 0
		.amdhsa_exception_fp_ieee_invalid_op 0
		.amdhsa_exception_fp_denorm_src 0
		.amdhsa_exception_fp_ieee_div_zero 0
		.amdhsa_exception_fp_ieee_overflow 0
		.amdhsa_exception_fp_ieee_underflow 0
		.amdhsa_exception_fp_ieee_inexact 0
		.amdhsa_exception_int_div_zero 0
	.end_amdhsa_kernel
	.section	.text._Z6kernelI14subtract_rightLj256ELj32ELb0EJPdS1_jEEvDpT3_,"axG",@progbits,_Z6kernelI14subtract_rightLj256ELj32ELb0EJPdS1_jEEvDpT3_,comdat
.Lfunc_end89:
	.size	_Z6kernelI14subtract_rightLj256ELj32ELb0EJPdS1_jEEvDpT3_, .Lfunc_end89-_Z6kernelI14subtract_rightLj256ELj32ELb0EJPdS1_jEEvDpT3_
                                        ; -- End function
	.section	.AMDGPU.csdata,"",@progbits
; Kernel info:
; codeLenInByte = 2104
; NumSgprs: 18
; NumVgprs: 94
; ScratchSize: 0
; MemoryBound: 0
; FloatMode: 240
; IeeeMode: 1
; LDSByteSize: 4096 bytes/workgroup (compile time only)
; SGPRBlocks: 2
; VGPRBlocks: 11
; NumSGPRsForWavesPerEU: 18
; NumVGPRsForWavesPerEU: 94
; Occupancy: 16
; WaveLimiterHint : 1
; COMPUTE_PGM_RSRC2:SCRATCH_EN: 0
; COMPUTE_PGM_RSRC2:USER_SGPR: 15
; COMPUTE_PGM_RSRC2:TRAP_HANDLER: 0
; COMPUTE_PGM_RSRC2:TGID_X_EN: 1
; COMPUTE_PGM_RSRC2:TGID_Y_EN: 0
; COMPUTE_PGM_RSRC2:TGID_Z_EN: 0
; COMPUTE_PGM_RSRC2:TIDIG_COMP_CNT: 0
	.section	.text._Z6kernelI14subtract_rightLj256ELj1ELb1EJPiS1_jEEvDpT3_,"axG",@progbits,_Z6kernelI14subtract_rightLj256ELj1ELb1EJPiS1_jEEvDpT3_,comdat
	.protected	_Z6kernelI14subtract_rightLj256ELj1ELb1EJPiS1_jEEvDpT3_ ; -- Begin function _Z6kernelI14subtract_rightLj256ELj1ELb1EJPiS1_jEEvDpT3_
	.globl	_Z6kernelI14subtract_rightLj256ELj1ELb1EJPiS1_jEEvDpT3_
	.p2align	8
	.type	_Z6kernelI14subtract_rightLj256ELj1ELb1EJPiS1_jEEvDpT3_,@function
_Z6kernelI14subtract_rightLj256ELj1ELb1EJPiS1_jEEvDpT3_: ; @_Z6kernelI14subtract_rightLj256ELj1ELb1EJPiS1_jEEvDpT3_
; %bb.0:
	s_load_b128 s[4:7], s[0:1], 0x0
	s_lshl_b32 s2, s15, 8
	s_mov_b32 s3, 0
	v_lshlrev_b32_e32 v1, 2, v0
	s_lshl_b64 s[2:3], s[2:3], 2
	s_load_b32 s0, s[0:1], 0x10
	s_waitcnt lgkmcnt(0)
	s_add_u32 s4, s4, s2
	s_addc_u32 s5, s5, s3
	global_load_b32 v2, v1, s[4:5]
	s_cmp_eq_u32 s0, 0
	s_cbranch_scc1 .LBB90_5
; %bb.1:
	v_cmp_ne_u32_e32 vcc_lo, 0xff, v0
	v_or_b32_e32 v0, 0x400, v1
	s_branch .LBB90_3
	.p2align	6
.LBB90_2:                               ;   in Loop: Header=BB90_3 Depth=1
	s_or_b32 exec_lo, exec_lo, s1
	v_lshlrev_b32_e32 v2, 1, v2
	s_add_i32 s0, s0, -1
	s_waitcnt lgkmcnt(0)
	s_cmp_lg_u32 s0, 0
	s_barrier
	v_sub_nc_u32_e32 v2, v2, v3
	buffer_gl0_inv
	s_cbranch_scc0 .LBB90_5
.LBB90_3:                               ; =>This Inner Loop Header: Depth=1
	v_mov_b32_e32 v3, 0x7b
	s_waitcnt vmcnt(0)
	ds_store_b32 v1, v2 offset:1024
	s_waitcnt lgkmcnt(0)
	s_barrier
	buffer_gl0_inv
	s_and_saveexec_b32 s1, vcc_lo
	s_cbranch_execz .LBB90_2
; %bb.4:                                ;   in Loop: Header=BB90_3 Depth=1
	ds_load_b32 v3, v0 offset:4
	s_branch .LBB90_2
.LBB90_5:
	s_add_u32 s0, s6, s2
	s_addc_u32 s1, s7, s3
	s_waitcnt vmcnt(0)
	global_store_b32 v1, v2, s[0:1]
	s_nop 0
	s_sendmsg sendmsg(MSG_DEALLOC_VGPRS)
	s_endpgm
	.section	.rodata,"a",@progbits
	.p2align	6, 0x0
	.amdhsa_kernel _Z6kernelI14subtract_rightLj256ELj1ELb1EJPiS1_jEEvDpT3_
		.amdhsa_group_segment_fixed_size 2048
		.amdhsa_private_segment_fixed_size 0
		.amdhsa_kernarg_size 20
		.amdhsa_user_sgpr_count 15
		.amdhsa_user_sgpr_dispatch_ptr 0
		.amdhsa_user_sgpr_queue_ptr 0
		.amdhsa_user_sgpr_kernarg_segment_ptr 1
		.amdhsa_user_sgpr_dispatch_id 0
		.amdhsa_user_sgpr_private_segment_size 0
		.amdhsa_wavefront_size32 1
		.amdhsa_uses_dynamic_stack 0
		.amdhsa_enable_private_segment 0
		.amdhsa_system_sgpr_workgroup_id_x 1
		.amdhsa_system_sgpr_workgroup_id_y 0
		.amdhsa_system_sgpr_workgroup_id_z 0
		.amdhsa_system_sgpr_workgroup_info 0
		.amdhsa_system_vgpr_workitem_id 0
		.amdhsa_next_free_vgpr 4
		.amdhsa_next_free_sgpr 16
		.amdhsa_reserve_vcc 1
		.amdhsa_float_round_mode_32 0
		.amdhsa_float_round_mode_16_64 0
		.amdhsa_float_denorm_mode_32 3
		.amdhsa_float_denorm_mode_16_64 3
		.amdhsa_dx10_clamp 1
		.amdhsa_ieee_mode 1
		.amdhsa_fp16_overflow 0
		.amdhsa_workgroup_processor_mode 1
		.amdhsa_memory_ordered 1
		.amdhsa_forward_progress 0
		.amdhsa_shared_vgpr_count 0
		.amdhsa_exception_fp_ieee_invalid_op 0
		.amdhsa_exception_fp_denorm_src 0
		.amdhsa_exception_fp_ieee_div_zero 0
		.amdhsa_exception_fp_ieee_overflow 0
		.amdhsa_exception_fp_ieee_underflow 0
		.amdhsa_exception_fp_ieee_inexact 0
		.amdhsa_exception_int_div_zero 0
	.end_amdhsa_kernel
	.section	.text._Z6kernelI14subtract_rightLj256ELj1ELb1EJPiS1_jEEvDpT3_,"axG",@progbits,_Z6kernelI14subtract_rightLj256ELj1ELb1EJPiS1_jEEvDpT3_,comdat
.Lfunc_end90:
	.size	_Z6kernelI14subtract_rightLj256ELj1ELb1EJPiS1_jEEvDpT3_, .Lfunc_end90-_Z6kernelI14subtract_rightLj256ELj1ELb1EJPiS1_jEEvDpT3_
                                        ; -- End function
	.section	.AMDGPU.csdata,"",@progbits
; Kernel info:
; codeLenInByte = 208
; NumSgprs: 18
; NumVgprs: 4
; ScratchSize: 0
; MemoryBound: 0
; FloatMode: 240
; IeeeMode: 1
; LDSByteSize: 2048 bytes/workgroup (compile time only)
; SGPRBlocks: 2
; VGPRBlocks: 0
; NumSGPRsForWavesPerEU: 18
; NumVGPRsForWavesPerEU: 4
; Occupancy: 16
; WaveLimiterHint : 0
; COMPUTE_PGM_RSRC2:SCRATCH_EN: 0
; COMPUTE_PGM_RSRC2:USER_SGPR: 15
; COMPUTE_PGM_RSRC2:TRAP_HANDLER: 0
; COMPUTE_PGM_RSRC2:TGID_X_EN: 1
; COMPUTE_PGM_RSRC2:TGID_Y_EN: 0
; COMPUTE_PGM_RSRC2:TGID_Z_EN: 0
; COMPUTE_PGM_RSRC2:TIDIG_COMP_CNT: 0
	.section	.text._Z6kernelI14subtract_rightLj256ELj3ELb1EJPiS1_jEEvDpT3_,"axG",@progbits,_Z6kernelI14subtract_rightLj256ELj3ELb1EJPiS1_jEEvDpT3_,comdat
	.protected	_Z6kernelI14subtract_rightLj256ELj3ELb1EJPiS1_jEEvDpT3_ ; -- Begin function _Z6kernelI14subtract_rightLj256ELj3ELb1EJPiS1_jEEvDpT3_
	.globl	_Z6kernelI14subtract_rightLj256ELj3ELb1EJPiS1_jEEvDpT3_
	.p2align	8
	.type	_Z6kernelI14subtract_rightLj256ELj3ELb1EJPiS1_jEEvDpT3_,@function
_Z6kernelI14subtract_rightLj256ELj3ELb1EJPiS1_jEEvDpT3_: ; @_Z6kernelI14subtract_rightLj256ELj3ELb1EJPiS1_jEEvDpT3_
; %bb.0:
	s_load_b128 s[4:7], s[0:1], 0x0
	s_mov_b32 s3, 0
	s_mul_i32 s2, s15, 0x300
	v_lshlrev_b32_e32 v1, 2, v0
	s_lshl_b64 s[2:3], s[2:3], 2
	s_load_b32 s0, s[0:1], 0x10
	s_waitcnt lgkmcnt(0)
	s_add_u32 s4, s4, s2
	s_addc_u32 s5, s5, s3
	s_clause 0x2
	global_load_b32 v4, v1, s[4:5]
	global_load_b32 v3, v1, s[4:5] offset:1024
	global_load_b32 v2, v1, s[4:5] offset:2048
	s_cmp_eq_u32 s0, 0
	s_cbranch_scc1 .LBB91_5
; %bb.1:
	v_cmp_ne_u32_e32 vcc_lo, 0xff, v0
	v_or_b32_e32 v0, 0x400, v1
	s_branch .LBB91_3
	.p2align	6
.LBB91_2:                               ;   in Loop: Header=BB91_3 Depth=1
	s_or_b32 exec_lo, exec_lo, s1
	v_lshlrev_b32_e32 v4, 1, v4
	v_lshlrev_b32_e32 v6, 1, v3
	;; [unrolled: 1-line block ×3, first 2 shown]
	s_add_i32 s0, s0, -1
	s_waitcnt lgkmcnt(0)
	v_sub_nc_u32_e32 v4, v4, v3
	v_sub_nc_u32_e32 v3, v6, v2
	;; [unrolled: 1-line block ×3, first 2 shown]
	s_cmp_lg_u32 s0, 0
	s_barrier
	buffer_gl0_inv
	s_cbranch_scc0 .LBB91_5
.LBB91_3:                               ; =>This Inner Loop Header: Depth=1
	v_mov_b32_e32 v5, 0x7b
	s_waitcnt vmcnt(2)
	ds_store_b32 v1, v4 offset:1024
	s_waitcnt vmcnt(0) lgkmcnt(0)
	s_barrier
	buffer_gl0_inv
	s_and_saveexec_b32 s1, vcc_lo
	s_cbranch_execz .LBB91_2
; %bb.4:                                ;   in Loop: Header=BB91_3 Depth=1
	ds_load_b32 v5, v0 offset:4
	s_branch .LBB91_2
.LBB91_5:
	s_add_u32 s0, s6, s2
	s_addc_u32 s1, s7, s3
	s_waitcnt vmcnt(2)
	global_store_b32 v1, v4, s[0:1]
	s_waitcnt vmcnt(1)
	global_store_b32 v1, v3, s[0:1] offset:1024
	s_waitcnt vmcnt(0)
	global_store_b32 v1, v2, s[0:1] offset:2048
	s_nop 0
	s_sendmsg sendmsg(MSG_DEALLOC_VGPRS)
	s_endpgm
	.section	.rodata,"a",@progbits
	.p2align	6, 0x0
	.amdhsa_kernel _Z6kernelI14subtract_rightLj256ELj3ELb1EJPiS1_jEEvDpT3_
		.amdhsa_group_segment_fixed_size 2048
		.amdhsa_private_segment_fixed_size 0
		.amdhsa_kernarg_size 20
		.amdhsa_user_sgpr_count 15
		.amdhsa_user_sgpr_dispatch_ptr 0
		.amdhsa_user_sgpr_queue_ptr 0
		.amdhsa_user_sgpr_kernarg_segment_ptr 1
		.amdhsa_user_sgpr_dispatch_id 0
		.amdhsa_user_sgpr_private_segment_size 0
		.amdhsa_wavefront_size32 1
		.amdhsa_uses_dynamic_stack 0
		.amdhsa_enable_private_segment 0
		.amdhsa_system_sgpr_workgroup_id_x 1
		.amdhsa_system_sgpr_workgroup_id_y 0
		.amdhsa_system_sgpr_workgroup_id_z 0
		.amdhsa_system_sgpr_workgroup_info 0
		.amdhsa_system_vgpr_workitem_id 0
		.amdhsa_next_free_vgpr 8
		.amdhsa_next_free_sgpr 16
		.amdhsa_reserve_vcc 1
		.amdhsa_float_round_mode_32 0
		.amdhsa_float_round_mode_16_64 0
		.amdhsa_float_denorm_mode_32 3
		.amdhsa_float_denorm_mode_16_64 3
		.amdhsa_dx10_clamp 1
		.amdhsa_ieee_mode 1
		.amdhsa_fp16_overflow 0
		.amdhsa_workgroup_processor_mode 1
		.amdhsa_memory_ordered 1
		.amdhsa_forward_progress 0
		.amdhsa_shared_vgpr_count 0
		.amdhsa_exception_fp_ieee_invalid_op 0
		.amdhsa_exception_fp_denorm_src 0
		.amdhsa_exception_fp_ieee_div_zero 0
		.amdhsa_exception_fp_ieee_overflow 0
		.amdhsa_exception_fp_ieee_underflow 0
		.amdhsa_exception_fp_ieee_inexact 0
		.amdhsa_exception_int_div_zero 0
	.end_amdhsa_kernel
	.section	.text._Z6kernelI14subtract_rightLj256ELj3ELb1EJPiS1_jEEvDpT3_,"axG",@progbits,_Z6kernelI14subtract_rightLj256ELj3ELb1EJPiS1_jEEvDpT3_,comdat
.Lfunc_end91:
	.size	_Z6kernelI14subtract_rightLj256ELj3ELb1EJPiS1_jEEvDpT3_, .Lfunc_end91-_Z6kernelI14subtract_rightLj256ELj3ELb1EJPiS1_jEEvDpT3_
                                        ; -- End function
	.section	.AMDGPU.csdata,"",@progbits
; Kernel info:
; codeLenInByte = 272
; NumSgprs: 18
; NumVgprs: 8
; ScratchSize: 0
; MemoryBound: 0
; FloatMode: 240
; IeeeMode: 1
; LDSByteSize: 2048 bytes/workgroup (compile time only)
; SGPRBlocks: 2
; VGPRBlocks: 0
; NumSGPRsForWavesPerEU: 18
; NumVGPRsForWavesPerEU: 8
; Occupancy: 16
; WaveLimiterHint : 1
; COMPUTE_PGM_RSRC2:SCRATCH_EN: 0
; COMPUTE_PGM_RSRC2:USER_SGPR: 15
; COMPUTE_PGM_RSRC2:TRAP_HANDLER: 0
; COMPUTE_PGM_RSRC2:TGID_X_EN: 1
; COMPUTE_PGM_RSRC2:TGID_Y_EN: 0
; COMPUTE_PGM_RSRC2:TGID_Z_EN: 0
; COMPUTE_PGM_RSRC2:TIDIG_COMP_CNT: 0
	.section	.text._Z6kernelI14subtract_rightLj256ELj4ELb1EJPiS1_jEEvDpT3_,"axG",@progbits,_Z6kernelI14subtract_rightLj256ELj4ELb1EJPiS1_jEEvDpT3_,comdat
	.protected	_Z6kernelI14subtract_rightLj256ELj4ELb1EJPiS1_jEEvDpT3_ ; -- Begin function _Z6kernelI14subtract_rightLj256ELj4ELb1EJPiS1_jEEvDpT3_
	.globl	_Z6kernelI14subtract_rightLj256ELj4ELb1EJPiS1_jEEvDpT3_
	.p2align	8
	.type	_Z6kernelI14subtract_rightLj256ELj4ELb1EJPiS1_jEEvDpT3_,@function
_Z6kernelI14subtract_rightLj256ELj4ELb1EJPiS1_jEEvDpT3_: ; @_Z6kernelI14subtract_rightLj256ELj4ELb1EJPiS1_jEEvDpT3_
; %bb.0:
	s_load_b128 s[4:7], s[0:1], 0x0
	s_mov_b32 s3, 0
	s_lshl_b32 s2, s15, 10
	v_lshlrev_b32_e32 v1, 2, v0
	s_lshl_b64 s[2:3], s[2:3], 2
	s_load_b32 s0, s[0:1], 0x10
	s_waitcnt lgkmcnt(0)
	s_add_u32 s4, s4, s2
	s_addc_u32 s5, s5, s3
	s_clause 0x3
	global_load_b32 v5, v1, s[4:5]
	global_load_b32 v4, v1, s[4:5] offset:1024
	global_load_b32 v3, v1, s[4:5] offset:2048
	;; [unrolled: 1-line block ×3, first 2 shown]
	s_cmp_eq_u32 s0, 0
	s_cbranch_scc1 .LBB92_5
; %bb.1:
	v_cmp_ne_u32_e32 vcc_lo, 0xff, v0
	v_or_b32_e32 v0, 0x400, v1
	s_branch .LBB92_3
	.p2align	6
.LBB92_2:                               ;   in Loop: Header=BB92_3 Depth=1
	s_or_b32 exec_lo, exec_lo, s1
	v_lshlrev_b32_e32 v5, 1, v5
	v_lshlrev_b32_e32 v7, 1, v4
	v_lshlrev_b32_e32 v8, 1, v3
	v_lshlrev_b32_e32 v9, 1, v2
	s_add_i32 s0, s0, -1
	v_sub_nc_u32_e32 v5, v5, v4
	v_sub_nc_u32_e32 v4, v7, v3
	;; [unrolled: 1-line block ×3, first 2 shown]
	s_waitcnt lgkmcnt(0)
	v_sub_nc_u32_e32 v2, v9, v6
	s_cmp_lg_u32 s0, 0
	s_barrier
	buffer_gl0_inv
	s_cbranch_scc0 .LBB92_5
.LBB92_3:                               ; =>This Inner Loop Header: Depth=1
	v_mov_b32_e32 v6, 0x7b
	s_waitcnt vmcnt(3)
	ds_store_b32 v1, v5 offset:1024
	s_waitcnt vmcnt(0) lgkmcnt(0)
	s_barrier
	buffer_gl0_inv
	s_and_saveexec_b32 s1, vcc_lo
	s_cbranch_execz .LBB92_2
; %bb.4:                                ;   in Loop: Header=BB92_3 Depth=1
	ds_load_b32 v6, v0 offset:4
	s_branch .LBB92_2
.LBB92_5:
	s_add_u32 s0, s6, s2
	s_addc_u32 s1, s7, s3
	s_waitcnt vmcnt(3)
	global_store_b32 v1, v5, s[0:1]
	s_waitcnt vmcnt(2)
	global_store_b32 v1, v4, s[0:1] offset:1024
	s_waitcnt vmcnt(1)
	global_store_b32 v1, v3, s[0:1] offset:2048
	;; [unrolled: 2-line block ×3, first 2 shown]
	s_nop 0
	s_sendmsg sendmsg(MSG_DEALLOC_VGPRS)
	s_endpgm
	.section	.rodata,"a",@progbits
	.p2align	6, 0x0
	.amdhsa_kernel _Z6kernelI14subtract_rightLj256ELj4ELb1EJPiS1_jEEvDpT3_
		.amdhsa_group_segment_fixed_size 2048
		.amdhsa_private_segment_fixed_size 0
		.amdhsa_kernarg_size 20
		.amdhsa_user_sgpr_count 15
		.amdhsa_user_sgpr_dispatch_ptr 0
		.amdhsa_user_sgpr_queue_ptr 0
		.amdhsa_user_sgpr_kernarg_segment_ptr 1
		.amdhsa_user_sgpr_dispatch_id 0
		.amdhsa_user_sgpr_private_segment_size 0
		.amdhsa_wavefront_size32 1
		.amdhsa_uses_dynamic_stack 0
		.amdhsa_enable_private_segment 0
		.amdhsa_system_sgpr_workgroup_id_x 1
		.amdhsa_system_sgpr_workgroup_id_y 0
		.amdhsa_system_sgpr_workgroup_id_z 0
		.amdhsa_system_sgpr_workgroup_info 0
		.amdhsa_system_vgpr_workitem_id 0
		.amdhsa_next_free_vgpr 10
		.amdhsa_next_free_sgpr 16
		.amdhsa_reserve_vcc 1
		.amdhsa_float_round_mode_32 0
		.amdhsa_float_round_mode_16_64 0
		.amdhsa_float_denorm_mode_32 3
		.amdhsa_float_denorm_mode_16_64 3
		.amdhsa_dx10_clamp 1
		.amdhsa_ieee_mode 1
		.amdhsa_fp16_overflow 0
		.amdhsa_workgroup_processor_mode 1
		.amdhsa_memory_ordered 1
		.amdhsa_forward_progress 0
		.amdhsa_shared_vgpr_count 0
		.amdhsa_exception_fp_ieee_invalid_op 0
		.amdhsa_exception_fp_denorm_src 0
		.amdhsa_exception_fp_ieee_div_zero 0
		.amdhsa_exception_fp_ieee_overflow 0
		.amdhsa_exception_fp_ieee_underflow 0
		.amdhsa_exception_fp_ieee_inexact 0
		.amdhsa_exception_int_div_zero 0
	.end_amdhsa_kernel
	.section	.text._Z6kernelI14subtract_rightLj256ELj4ELb1EJPiS1_jEEvDpT3_,"axG",@progbits,_Z6kernelI14subtract_rightLj256ELj4ELb1EJPiS1_jEEvDpT3_,comdat
.Lfunc_end92:
	.size	_Z6kernelI14subtract_rightLj256ELj4ELb1EJPiS1_jEEvDpT3_, .Lfunc_end92-_Z6kernelI14subtract_rightLj256ELj4ELb1EJPiS1_jEEvDpT3_
                                        ; -- End function
	.section	.AMDGPU.csdata,"",@progbits
; Kernel info:
; codeLenInByte = 296
; NumSgprs: 18
; NumVgprs: 10
; ScratchSize: 0
; MemoryBound: 0
; FloatMode: 240
; IeeeMode: 1
; LDSByteSize: 2048 bytes/workgroup (compile time only)
; SGPRBlocks: 2
; VGPRBlocks: 1
; NumSGPRsForWavesPerEU: 18
; NumVGPRsForWavesPerEU: 10
; Occupancy: 16
; WaveLimiterHint : 1
; COMPUTE_PGM_RSRC2:SCRATCH_EN: 0
; COMPUTE_PGM_RSRC2:USER_SGPR: 15
; COMPUTE_PGM_RSRC2:TRAP_HANDLER: 0
; COMPUTE_PGM_RSRC2:TGID_X_EN: 1
; COMPUTE_PGM_RSRC2:TGID_Y_EN: 0
; COMPUTE_PGM_RSRC2:TGID_Z_EN: 0
; COMPUTE_PGM_RSRC2:TIDIG_COMP_CNT: 0
	.section	.text._Z6kernelI14subtract_rightLj256ELj8ELb1EJPiS1_jEEvDpT3_,"axG",@progbits,_Z6kernelI14subtract_rightLj256ELj8ELb1EJPiS1_jEEvDpT3_,comdat
	.protected	_Z6kernelI14subtract_rightLj256ELj8ELb1EJPiS1_jEEvDpT3_ ; -- Begin function _Z6kernelI14subtract_rightLj256ELj8ELb1EJPiS1_jEEvDpT3_
	.globl	_Z6kernelI14subtract_rightLj256ELj8ELb1EJPiS1_jEEvDpT3_
	.p2align	8
	.type	_Z6kernelI14subtract_rightLj256ELj8ELb1EJPiS1_jEEvDpT3_,@function
_Z6kernelI14subtract_rightLj256ELj8ELb1EJPiS1_jEEvDpT3_: ; @_Z6kernelI14subtract_rightLj256ELj8ELb1EJPiS1_jEEvDpT3_
; %bb.0:
	s_load_b128 s[4:7], s[0:1], 0x0
	s_mov_b32 s3, 0
	s_lshl_b32 s2, s15, 11
	v_lshlrev_b32_e32 v1, 2, v0
	s_lshl_b64 s[2:3], s[2:3], 2
	s_load_b32 s0, s[0:1], 0x10
	s_waitcnt lgkmcnt(0)
	s_add_u32 s4, s4, s2
	s_addc_u32 s5, s5, s3
	v_add_co_u32 v2, s1, s4, v1
	s_delay_alu instid0(VALU_DEP_1) | instskip(SKIP_1) | instid1(VALU_DEP_2)
	v_add_co_ci_u32_e64 v3, null, s5, 0, s1
	s_cmp_eq_u32 s0, 0
	v_add_co_u32 v10, vcc_lo, 0x1000, v2
	s_delay_alu instid0(VALU_DEP_2)
	v_add_co_ci_u32_e32 v11, vcc_lo, 0, v3, vcc_lo
	s_clause 0x7
	global_load_b32 v8, v1, s[4:5]
	global_load_b32 v7, v1, s[4:5] offset:1024
	global_load_b32 v6, v1, s[4:5] offset:2048
	;; [unrolled: 1-line block ×3, first 2 shown]
	global_load_b32 v5, v[10:11], off
	global_load_b32 v4, v[10:11], off offset:1024
	global_load_b32 v3, v[10:11], off offset:2048
	;; [unrolled: 1-line block ×3, first 2 shown]
	s_cbranch_scc1 .LBB93_5
; %bb.1:
	v_cmp_ne_u32_e32 vcc_lo, 0xff, v0
	v_or_b32_e32 v0, 0x400, v1
	s_set_inst_prefetch_distance 0x1
	s_branch .LBB93_3
	.p2align	6
.LBB93_2:                               ;   in Loop: Header=BB93_3 Depth=1
	s_or_b32 exec_lo, exec_lo, s1
	v_lshlrev_b32_e32 v8, 1, v8
	v_lshlrev_b32_e32 v11, 1, v7
	;; [unrolled: 1-line block ×5, first 2 shown]
	v_sub_nc_u32_e32 v8, v8, v7
	v_sub_nc_u32_e32 v7, v11, v6
	;; [unrolled: 1-line block ×3, first 2 shown]
	v_lshlrev_b32_e32 v9, 1, v9
	v_lshlrev_b32_e32 v11, 1, v5
	;; [unrolled: 1-line block ×3, first 2 shown]
	s_add_i32 s0, s0, -1
	s_waitcnt lgkmcnt(0)
	v_sub_nc_u32_e32 v9, v9, v5
	v_sub_nc_u32_e32 v5, v11, v4
	;; [unrolled: 1-line block ×5, first 2 shown]
	s_cmp_lg_u32 s0, 0
	s_barrier
	buffer_gl0_inv
	s_cbranch_scc0 .LBB93_5
.LBB93_3:                               ; =>This Inner Loop Header: Depth=1
	v_mov_b32_e32 v10, 0x7b
	s_waitcnt vmcnt(7)
	ds_store_b32 v1, v8 offset:1024
	s_waitcnt vmcnt(0) lgkmcnt(0)
	s_barrier
	buffer_gl0_inv
	s_and_saveexec_b32 s1, vcc_lo
	s_cbranch_execz .LBB93_2
; %bb.4:                                ;   in Loop: Header=BB93_3 Depth=1
	ds_load_b32 v10, v0 offset:4
	s_branch .LBB93_2
.LBB93_5:
	s_set_inst_prefetch_distance 0x2
	s_add_u32 s0, s6, s2
	s_addc_u32 s1, s7, s3
	v_add_co_u32 v0, s2, s0, v1
	s_delay_alu instid0(VALU_DEP_1) | instskip(NEXT) | instid1(VALU_DEP_2)
	v_add_co_ci_u32_e64 v11, null, s1, 0, s2
	v_add_co_u32 v10, vcc_lo, 0x1000, v0
	s_delay_alu instid0(VALU_DEP_2)
	v_add_co_ci_u32_e32 v11, vcc_lo, 0, v11, vcc_lo
	s_waitcnt vmcnt(7)
	global_store_b32 v1, v8, s[0:1]
	s_waitcnt vmcnt(6)
	global_store_b32 v1, v7, s[0:1] offset:1024
	s_waitcnt vmcnt(5)
	global_store_b32 v1, v6, s[0:1] offset:2048
	;; [unrolled: 2-line block ×3, first 2 shown]
	s_waitcnt vmcnt(3)
	global_store_b32 v[10:11], v5, off
	s_waitcnt vmcnt(2)
	global_store_b32 v[10:11], v4, off offset:1024
	s_waitcnt vmcnt(1)
	global_store_b32 v[10:11], v3, off offset:2048
	;; [unrolled: 2-line block ×3, first 2 shown]
	s_nop 0
	s_sendmsg sendmsg(MSG_DEALLOC_VGPRS)
	s_endpgm
	.section	.rodata,"a",@progbits
	.p2align	6, 0x0
	.amdhsa_kernel _Z6kernelI14subtract_rightLj256ELj8ELb1EJPiS1_jEEvDpT3_
		.amdhsa_group_segment_fixed_size 2048
		.amdhsa_private_segment_fixed_size 0
		.amdhsa_kernarg_size 20
		.amdhsa_user_sgpr_count 15
		.amdhsa_user_sgpr_dispatch_ptr 0
		.amdhsa_user_sgpr_queue_ptr 0
		.amdhsa_user_sgpr_kernarg_segment_ptr 1
		.amdhsa_user_sgpr_dispatch_id 0
		.amdhsa_user_sgpr_private_segment_size 0
		.amdhsa_wavefront_size32 1
		.amdhsa_uses_dynamic_stack 0
		.amdhsa_enable_private_segment 0
		.amdhsa_system_sgpr_workgroup_id_x 1
		.amdhsa_system_sgpr_workgroup_id_y 0
		.amdhsa_system_sgpr_workgroup_id_z 0
		.amdhsa_system_sgpr_workgroup_info 0
		.amdhsa_system_vgpr_workitem_id 0
		.amdhsa_next_free_vgpr 15
		.amdhsa_next_free_sgpr 16
		.amdhsa_reserve_vcc 1
		.amdhsa_float_round_mode_32 0
		.amdhsa_float_round_mode_16_64 0
		.amdhsa_float_denorm_mode_32 3
		.amdhsa_float_denorm_mode_16_64 3
		.amdhsa_dx10_clamp 1
		.amdhsa_ieee_mode 1
		.amdhsa_fp16_overflow 0
		.amdhsa_workgroup_processor_mode 1
		.amdhsa_memory_ordered 1
		.amdhsa_forward_progress 0
		.amdhsa_shared_vgpr_count 0
		.amdhsa_exception_fp_ieee_invalid_op 0
		.amdhsa_exception_fp_denorm_src 0
		.amdhsa_exception_fp_ieee_div_zero 0
		.amdhsa_exception_fp_ieee_overflow 0
		.amdhsa_exception_fp_ieee_underflow 0
		.amdhsa_exception_fp_ieee_inexact 0
		.amdhsa_exception_int_div_zero 0
	.end_amdhsa_kernel
	.section	.text._Z6kernelI14subtract_rightLj256ELj8ELb1EJPiS1_jEEvDpT3_,"axG",@progbits,_Z6kernelI14subtract_rightLj256ELj8ELb1EJPiS1_jEEvDpT3_,comdat
.Lfunc_end93:
	.size	_Z6kernelI14subtract_rightLj256ELj8ELb1EJPiS1_jEEvDpT3_, .Lfunc_end93-_Z6kernelI14subtract_rightLj256ELj8ELb1EJPiS1_jEEvDpT3_
                                        ; -- End function
	.section	.AMDGPU.csdata,"",@progbits
; Kernel info:
; codeLenInByte = 496
; NumSgprs: 18
; NumVgprs: 15
; ScratchSize: 0
; MemoryBound: 0
; FloatMode: 240
; IeeeMode: 1
; LDSByteSize: 2048 bytes/workgroup (compile time only)
; SGPRBlocks: 2
; VGPRBlocks: 1
; NumSGPRsForWavesPerEU: 18
; NumVGPRsForWavesPerEU: 15
; Occupancy: 16
; WaveLimiterHint : 1
; COMPUTE_PGM_RSRC2:SCRATCH_EN: 0
; COMPUTE_PGM_RSRC2:USER_SGPR: 15
; COMPUTE_PGM_RSRC2:TRAP_HANDLER: 0
; COMPUTE_PGM_RSRC2:TGID_X_EN: 1
; COMPUTE_PGM_RSRC2:TGID_Y_EN: 0
; COMPUTE_PGM_RSRC2:TGID_Z_EN: 0
; COMPUTE_PGM_RSRC2:TIDIG_COMP_CNT: 0
	.section	.text._Z6kernelI14subtract_rightLj256ELj16ELb1EJPiS1_jEEvDpT3_,"axG",@progbits,_Z6kernelI14subtract_rightLj256ELj16ELb1EJPiS1_jEEvDpT3_,comdat
	.protected	_Z6kernelI14subtract_rightLj256ELj16ELb1EJPiS1_jEEvDpT3_ ; -- Begin function _Z6kernelI14subtract_rightLj256ELj16ELb1EJPiS1_jEEvDpT3_
	.globl	_Z6kernelI14subtract_rightLj256ELj16ELb1EJPiS1_jEEvDpT3_
	.p2align	8
	.type	_Z6kernelI14subtract_rightLj256ELj16ELb1EJPiS1_jEEvDpT3_,@function
_Z6kernelI14subtract_rightLj256ELj16ELb1EJPiS1_jEEvDpT3_: ; @_Z6kernelI14subtract_rightLj256ELj16ELb1EJPiS1_jEEvDpT3_
; %bb.0:
	s_load_b128 s[4:7], s[0:1], 0x0
	s_mov_b32 s3, 0
	s_lshl_b32 s2, s15, 12
	v_lshlrev_b32_e32 v1, 2, v0
	s_lshl_b64 s[2:3], s[2:3], 2
	s_load_b32 s0, s[0:1], 0x10
	s_waitcnt lgkmcnt(0)
	s_add_u32 s4, s4, s2
	s_addc_u32 s5, s5, s3
	v_add_co_u32 v6, s1, s4, v1
	s_delay_alu instid0(VALU_DEP_1) | instskip(SKIP_1) | instid1(VALU_DEP_2)
	v_add_co_ci_u32_e64 v7, null, s5, 0, s1
	s_cmp_eq_u32 s0, 0
	v_add_co_u32 v2, vcc_lo, 0x1000, v6
	s_delay_alu instid0(VALU_DEP_2)
	v_add_co_ci_u32_e32 v3, vcc_lo, 0, v7, vcc_lo
	v_add_co_u32 v18, vcc_lo, v6, 0x2000
	v_add_co_ci_u32_e32 v19, vcc_lo, 0, v7, vcc_lo
	v_add_co_u32 v4, vcc_lo, 0x2000, v6
	;; [unrolled: 2-line block ×3, first 2 shown]
	v_add_co_ci_u32_e32 v21, vcc_lo, 0, v7, vcc_lo
	s_clause 0xf
	global_load_b32 v17, v[18:19], off
	global_load_b32 v16, v1, s[4:5]
	global_load_b32 v15, v1, s[4:5] offset:1024
	global_load_b32 v14, v1, s[4:5] offset:2048
	;; [unrolled: 1-line block ×3, first 2 shown]
	global_load_b32 v11, v[2:3], off offset:1024
	global_load_b32 v10, v[2:3], off offset:2048
	;; [unrolled: 1-line block ×6, first 2 shown]
	global_load_b32 v5, v[20:21], off
	global_load_b32 v4, v[20:21], off offset:1024
	global_load_b32 v3, v[20:21], off offset:2048
	global_load_b32 v12, v[18:19], off offset:-4096
	global_load_b32 v2, v[20:21], off offset:3072
	s_cbranch_scc1 .LBB94_5
; %bb.1:
	v_cmp_ne_u32_e32 vcc_lo, 0xff, v0
	v_or_b32_e32 v0, 0x400, v1
	s_set_inst_prefetch_distance 0x1
	s_branch .LBB94_3
	.p2align	6
.LBB94_2:                               ;   in Loop: Header=BB94_3 Depth=1
	s_or_b32 exec_lo, exec_lo, s1
	v_sub_nc_u32_e32 v19, v16, v15
	v_sub_nc_u32_e32 v20, v15, v14
	;; [unrolled: 1-line block ×15, first 2 shown]
	s_waitcnt lgkmcnt(0)
	v_sub_nc_u32_e32 v18, v2, v18
	v_add_nc_u32_e32 v16, v19, v16
	v_add_nc_u32_e32 v15, v20, v15
	v_add_nc_u32_e32 v14, v21, v14
	v_add_nc_u32_e32 v13, v22, v13
	v_add_nc_u32_e32 v12, v23, v12
	v_add_nc_u32_e32 v11, v24, v11
	v_add_nc_u32_e32 v10, v25, v10
	v_add_nc_u32_e32 v9, v26, v9
	v_add_nc_u32_e32 v17, v27, v17
	v_add_nc_u32_e32 v8, v28, v8
	v_add_nc_u32_e32 v7, v29, v7
	v_add_nc_u32_e32 v6, v30, v6
	v_add_nc_u32_e32 v5, v31, v5
	v_add_nc_u32_e32 v4, v32, v4
	v_add_nc_u32_e32 v3, v33, v3
	v_add_nc_u32_e32 v2, v18, v2
	s_add_i32 s0, s0, -1
	s_delay_alu instid0(SALU_CYCLE_1)
	s_cmp_lg_u32 s0, 0
	s_barrier
	buffer_gl0_inv
	s_cbranch_scc0 .LBB94_5
.LBB94_3:                               ; =>This Inner Loop Header: Depth=1
	v_mov_b32_e32 v18, 0x7b
	s_waitcnt vmcnt(14)
	ds_store_b32 v1, v16 offset:1024
	s_waitcnt vmcnt(0) lgkmcnt(0)
	s_barrier
	buffer_gl0_inv
	s_and_saveexec_b32 s1, vcc_lo
	s_cbranch_execz .LBB94_2
; %bb.4:                                ;   in Loop: Header=BB94_3 Depth=1
	ds_load_b32 v18, v0 offset:4
	s_branch .LBB94_2
.LBB94_5:
	s_set_inst_prefetch_distance 0x2
	s_add_u32 s0, s6, s2
	s_addc_u32 s1, s7, s3
	v_add_co_u32 v0, s2, s0, v1
	s_delay_alu instid0(VALU_DEP_1) | instskip(NEXT) | instid1(VALU_DEP_2)
	v_add_co_ci_u32_e64 v25, null, s1, 0, s2
	v_add_co_u32 v18, vcc_lo, 0x1000, v0
	s_delay_alu instid0(VALU_DEP_2)
	v_add_co_ci_u32_e32 v19, vcc_lo, 0, v25, vcc_lo
	v_add_co_u32 v20, vcc_lo, v0, 0x2000
	v_add_co_ci_u32_e32 v21, vcc_lo, 0, v25, vcc_lo
	v_add_co_u32 v22, vcc_lo, 0x2000, v0
	;; [unrolled: 2-line block ×3, first 2 shown]
	s_waitcnt vmcnt(15)
	global_store_b32 v[20:21], v17, off
	v_add_co_ci_u32_e32 v25, vcc_lo, 0, v25, vcc_lo
	s_waitcnt vmcnt(14)
	global_store_b32 v1, v16, s[0:1]
	s_waitcnt vmcnt(13)
	global_store_b32 v1, v15, s[0:1] offset:1024
	s_waitcnt vmcnt(12)
	global_store_b32 v1, v14, s[0:1] offset:2048
	;; [unrolled: 2-line block ×3, first 2 shown]
	s_waitcnt vmcnt(10)
	global_store_b32 v[18:19], v11, off offset:1024
	s_waitcnt vmcnt(9)
	global_store_b32 v[18:19], v10, off offset:2048
	;; [unrolled: 2-line block ×6, first 2 shown]
	s_waitcnt vmcnt(4)
	global_store_b32 v[24:25], v5, off
	s_waitcnt vmcnt(3)
	global_store_b32 v[24:25], v4, off offset:1024
	s_waitcnt vmcnt(2)
	global_store_b32 v[24:25], v3, off offset:2048
	s_waitcnt vmcnt(1)
	global_store_b32 v[20:21], v12, off offset:-4096
	s_waitcnt vmcnt(0)
	global_store_b32 v[24:25], v2, off offset:3072
	s_nop 0
	s_sendmsg sendmsg(MSG_DEALLOC_VGPRS)
	s_endpgm
	.section	.rodata,"a",@progbits
	.p2align	6, 0x0
	.amdhsa_kernel _Z6kernelI14subtract_rightLj256ELj16ELb1EJPiS1_jEEvDpT3_
		.amdhsa_group_segment_fixed_size 2048
		.amdhsa_private_segment_fixed_size 0
		.amdhsa_kernarg_size 20
		.amdhsa_user_sgpr_count 15
		.amdhsa_user_sgpr_dispatch_ptr 0
		.amdhsa_user_sgpr_queue_ptr 0
		.amdhsa_user_sgpr_kernarg_segment_ptr 1
		.amdhsa_user_sgpr_dispatch_id 0
		.amdhsa_user_sgpr_private_segment_size 0
		.amdhsa_wavefront_size32 1
		.amdhsa_uses_dynamic_stack 0
		.amdhsa_enable_private_segment 0
		.amdhsa_system_sgpr_workgroup_id_x 1
		.amdhsa_system_sgpr_workgroup_id_y 0
		.amdhsa_system_sgpr_workgroup_id_z 0
		.amdhsa_system_sgpr_workgroup_info 0
		.amdhsa_system_vgpr_workitem_id 0
		.amdhsa_next_free_vgpr 34
		.amdhsa_next_free_sgpr 16
		.amdhsa_reserve_vcc 1
		.amdhsa_float_round_mode_32 0
		.amdhsa_float_round_mode_16_64 0
		.amdhsa_float_denorm_mode_32 3
		.amdhsa_float_denorm_mode_16_64 3
		.amdhsa_dx10_clamp 1
		.amdhsa_ieee_mode 1
		.amdhsa_fp16_overflow 0
		.amdhsa_workgroup_processor_mode 1
		.amdhsa_memory_ordered 1
		.amdhsa_forward_progress 0
		.amdhsa_shared_vgpr_count 0
		.amdhsa_exception_fp_ieee_invalid_op 0
		.amdhsa_exception_fp_denorm_src 0
		.amdhsa_exception_fp_ieee_div_zero 0
		.amdhsa_exception_fp_ieee_overflow 0
		.amdhsa_exception_fp_ieee_underflow 0
		.amdhsa_exception_fp_ieee_inexact 0
		.amdhsa_exception_int_div_zero 0
	.end_amdhsa_kernel
	.section	.text._Z6kernelI14subtract_rightLj256ELj16ELb1EJPiS1_jEEvDpT3_,"axG",@progbits,_Z6kernelI14subtract_rightLj256ELj16ELb1EJPiS1_jEEvDpT3_,comdat
.Lfunc_end94:
	.size	_Z6kernelI14subtract_rightLj256ELj16ELb1EJPiS1_jEEvDpT3_, .Lfunc_end94-_Z6kernelI14subtract_rightLj256ELj16ELb1EJPiS1_jEEvDpT3_
                                        ; -- End function
	.section	.AMDGPU.csdata,"",@progbits
; Kernel info:
; codeLenInByte = 820
; NumSgprs: 18
; NumVgprs: 34
; ScratchSize: 0
; MemoryBound: 0
; FloatMode: 240
; IeeeMode: 1
; LDSByteSize: 2048 bytes/workgroup (compile time only)
; SGPRBlocks: 2
; VGPRBlocks: 4
; NumSGPRsForWavesPerEU: 18
; NumVGPRsForWavesPerEU: 34
; Occupancy: 16
; WaveLimiterHint : 1
; COMPUTE_PGM_RSRC2:SCRATCH_EN: 0
; COMPUTE_PGM_RSRC2:USER_SGPR: 15
; COMPUTE_PGM_RSRC2:TRAP_HANDLER: 0
; COMPUTE_PGM_RSRC2:TGID_X_EN: 1
; COMPUTE_PGM_RSRC2:TGID_Y_EN: 0
; COMPUTE_PGM_RSRC2:TGID_Z_EN: 0
; COMPUTE_PGM_RSRC2:TIDIG_COMP_CNT: 0
	.section	.text._Z6kernelI14subtract_rightLj256ELj32ELb1EJPiS1_jEEvDpT3_,"axG",@progbits,_Z6kernelI14subtract_rightLj256ELj32ELb1EJPiS1_jEEvDpT3_,comdat
	.protected	_Z6kernelI14subtract_rightLj256ELj32ELb1EJPiS1_jEEvDpT3_ ; -- Begin function _Z6kernelI14subtract_rightLj256ELj32ELb1EJPiS1_jEEvDpT3_
	.globl	_Z6kernelI14subtract_rightLj256ELj32ELb1EJPiS1_jEEvDpT3_
	.p2align	8
	.type	_Z6kernelI14subtract_rightLj256ELj32ELb1EJPiS1_jEEvDpT3_,@function
_Z6kernelI14subtract_rightLj256ELj32ELb1EJPiS1_jEEvDpT3_: ; @_Z6kernelI14subtract_rightLj256ELj32ELb1EJPiS1_jEEvDpT3_
; %bb.0:
	s_load_b128 s[4:7], s[0:1], 0x0
	s_mov_b32 s3, 0
	s_lshl_b32 s2, s15, 13
	v_lshlrev_b32_e32 v1, 2, v0
	s_lshl_b64 s[2:3], s[2:3], 2
	s_load_b32 s0, s[0:1], 0x10
	s_waitcnt lgkmcnt(0)
	s_add_u32 s4, s4, s2
	s_addc_u32 s5, s5, s3
	v_add_co_u32 v10, s1, s4, v1
	s_delay_alu instid0(VALU_DEP_1) | instskip(SKIP_1) | instid1(VALU_DEP_2)
	v_add_co_ci_u32_e64 v11, null, s5, 0, s1
	s_cmp_eq_u32 s0, 0
	v_add_co_u32 v2, vcc_lo, 0x1000, v10
	s_delay_alu instid0(VALU_DEP_2)
	v_add_co_ci_u32_e32 v3, vcc_lo, 0, v11, vcc_lo
	v_add_co_u32 v34, vcc_lo, v10, 0x2000
	v_add_co_ci_u32_e32 v35, vcc_lo, 0, v11, vcc_lo
	v_add_co_u32 v4, vcc_lo, 0x2000, v10
	v_add_co_ci_u32_e32 v5, vcc_lo, 0, v11, vcc_lo
	s_clause 0x7
	global_load_b32 v33, v1, s[4:5]
	global_load_b32 v32, v1, s[4:5] offset:1024
	global_load_b32 v31, v1, s[4:5] offset:2048
	;; [unrolled: 1-line block ×3, first 2 shown]
	global_load_b32 v28, v[2:3], off offset:1024
	global_load_b32 v27, v[2:3], off offset:2048
	;; [unrolled: 1-line block ×4, first 2 shown]
	v_add_co_u32 v2, vcc_lo, 0x3000, v10
	v_add_co_ci_u32_e32 v3, vcc_lo, 0, v11, vcc_lo
	v_add_co_u32 v6, vcc_lo, v10, 0x4000
	v_add_co_ci_u32_e32 v7, vcc_lo, 0, v11, vcc_lo
	;; [unrolled: 2-line block ×3, first 2 shown]
	s_clause 0x7
	global_load_b32 v23, v[4:5], off offset:2048
	global_load_b32 v22, v[4:5], off offset:3072
	;; [unrolled: 1-line block ×8, first 2 shown]
	v_add_co_u32 v2, vcc_lo, 0x5000, v10
	v_add_co_ci_u32_e32 v3, vcc_lo, 0, v11, vcc_lo
	v_add_co_u32 v4, vcc_lo, v10, 0x6000
	v_add_co_ci_u32_e32 v5, vcc_lo, 0, v11, vcc_lo
	;; [unrolled: 2-line block ×3, first 2 shown]
	v_add_co_u32 v38, vcc_lo, 0x7000, v10
	s_clause 0x4
	global_load_b32 v25, v[34:35], off
	global_load_b32 v21, v[6:7], off offset:-4096
	global_load_b32 v17, v[6:7], off
	global_load_b32 v13, v[4:5], off offset:-4096
	global_load_b32 v9, v[4:5], off
	v_add_co_ci_u32_e32 v39, vcc_lo, 0, v11, vcc_lo
	s_clause 0xa
	global_load_b32 v12, v[2:3], off offset:1024
	global_load_b32 v11, v[2:3], off offset:2048
	;; [unrolled: 1-line block ×6, first 2 shown]
	global_load_b32 v5, v[38:39], off
	global_load_b32 v4, v[38:39], off offset:1024
	global_load_b32 v3, v[38:39], off offset:2048
	global_load_b32 v29, v[34:35], off offset:-4096
	global_load_b32 v2, v[38:39], off offset:3072
	s_cbranch_scc1 .LBB95_5
; %bb.1:
	v_cmp_ne_u32_e32 vcc_lo, 0xff, v0
	v_or_b32_e32 v0, 0x400, v1
	s_branch .LBB95_3
.LBB95_2:                               ;   in Loop: Header=BB95_3 Depth=1
	s_or_b32 exec_lo, exec_lo, s1
	v_sub_nc_u32_e32 v35, v33, v32
	v_sub_nc_u32_e32 v36, v32, v31
	v_sub_nc_u32_e32 v37, v31, v30
	v_sub_nc_u32_e32 v38, v30, v29
	v_sub_nc_u32_e32 v39, v29, v28
	v_sub_nc_u32_e32 v40, v28, v27
	v_sub_nc_u32_e32 v41, v27, v26
	v_sub_nc_u32_e32 v42, v26, v25
	v_sub_nc_u32_e32 v43, v25, v24
	v_sub_nc_u32_e32 v44, v24, v23
	v_sub_nc_u32_e32 v45, v23, v22
	v_sub_nc_u32_e32 v46, v22, v21
	v_sub_nc_u32_e32 v47, v21, v20
	v_sub_nc_u32_e32 v48, v20, v19
	v_sub_nc_u32_e32 v49, v19, v18
	v_sub_nc_u32_e32 v50, v18, v17
	v_sub_nc_u32_e32 v51, v17, v16
	v_sub_nc_u32_e32 v52, v16, v15
	v_sub_nc_u32_e32 v53, v15, v14
	v_sub_nc_u32_e32 v54, v14, v13
	v_sub_nc_u32_e32 v55, v13, v12
	v_sub_nc_u32_e32 v56, v12, v11
	v_sub_nc_u32_e32 v57, v11, v10
	v_sub_nc_u32_e32 v58, v10, v9
	v_sub_nc_u32_e32 v59, v9, v8
	v_sub_nc_u32_e32 v60, v8, v7
	v_sub_nc_u32_e32 v61, v7, v6
	v_sub_nc_u32_e32 v62, v6, v5
	v_sub_nc_u32_e32 v63, v5, v4
	v_sub_nc_u32_e32 v64, v4, v3
	v_sub_nc_u32_e32 v65, v3, v2
	s_waitcnt lgkmcnt(0)
	v_sub_nc_u32_e32 v34, v2, v34
	v_add_nc_u32_e32 v33, v35, v33
	v_add_nc_u32_e32 v32, v36, v32
	;; [unrolled: 1-line block ×32, first 2 shown]
	s_add_i32 s0, s0, -1
	s_delay_alu instid0(SALU_CYCLE_1)
	s_cmp_lg_u32 s0, 0
	s_barrier
	buffer_gl0_inv
	s_cbranch_scc0 .LBB95_5
.LBB95_3:                               ; =>This Inner Loop Header: Depth=1
	v_mov_b32_e32 v34, 0x7b
	s_waitcnt vmcnt(31)
	ds_store_b32 v1, v33 offset:1024
	s_waitcnt vmcnt(0) lgkmcnt(0)
	s_barrier
	buffer_gl0_inv
	s_and_saveexec_b32 s1, vcc_lo
	s_cbranch_execz .LBB95_2
; %bb.4:                                ;   in Loop: Header=BB95_3 Depth=1
	ds_load_b32 v34, v0 offset:4
	s_branch .LBB95_2
.LBB95_5:
	s_add_u32 s0, s6, s2
	s_addc_u32 s1, s7, s3
	v_add_co_u32 v40, s2, s0, v1
	s_delay_alu instid0(VALU_DEP_1) | instskip(NEXT) | instid1(VALU_DEP_2)
	v_add_co_ci_u32_e64 v41, null, s1, 0, s2
	v_add_co_u32 v34, vcc_lo, 0x1000, v40
	s_delay_alu instid0(VALU_DEP_2)
	v_add_co_ci_u32_e32 v35, vcc_lo, 0, v41, vcc_lo
	v_add_co_u32 v36, vcc_lo, v40, 0x2000
	v_add_co_ci_u32_e32 v37, vcc_lo, 0, v41, vcc_lo
	v_add_co_u32 v38, vcc_lo, 0x2000, v40
	;; [unrolled: 2-line block ×3, first 2 shown]
	s_waitcnt vmcnt(31)
	global_store_b32 v1, v33, s[0:1]
	s_waitcnt vmcnt(30)
	global_store_b32 v1, v32, s[0:1] offset:1024
	s_waitcnt vmcnt(29)
	global_store_b32 v1, v31, s[0:1] offset:2048
	;; [unrolled: 2-line block ×3, first 2 shown]
	s_waitcnt vmcnt(27)
	global_store_b32 v[34:35], v28, off offset:1024
	s_waitcnt vmcnt(26)
	global_store_b32 v[34:35], v27, off offset:2048
	;; [unrolled: 2-line block ×4, first 2 shown]
	v_add_co_ci_u32_e32 v1, vcc_lo, 0, v41, vcc_lo
	v_add_co_u32 v26, vcc_lo, v40, 0x4000
	v_add_co_ci_u32_e32 v27, vcc_lo, 0, v41, vcc_lo
	v_add_co_u32 v30, vcc_lo, 0x4000, v40
	v_add_co_ci_u32_e32 v31, vcc_lo, 0, v41, vcc_lo
	s_waitcnt vmcnt(23)
	global_store_b32 v[38:39], v23, off offset:2048
	s_waitcnt vmcnt(22)
	global_store_b32 v[38:39], v22, off offset:3072
	;; [unrolled: 2-line block ×8, first 2 shown]
	v_add_co_u32 v0, vcc_lo, 0x5000, v40
	v_add_co_ci_u32_e32 v1, vcc_lo, 0, v41, vcc_lo
	v_add_co_u32 v14, vcc_lo, v40, 0x6000
	v_add_co_ci_u32_e32 v15, vcc_lo, 0, v41, vcc_lo
	;; [unrolled: 2-line block ×3, first 2 shown]
	s_waitcnt vmcnt(15)
	global_store_b32 v[36:37], v25, off
	s_waitcnt vmcnt(14)
	global_store_b32 v[26:27], v21, off offset:-4096
	s_waitcnt vmcnt(13)
	global_store_b32 v[26:27], v17, off
	s_waitcnt vmcnt(12)
	global_store_b32 v[14:15], v13, off offset:-4096
	s_waitcnt vmcnt(11)
	global_store_b32 v[14:15], v9, off
	v_add_co_u32 v13, vcc_lo, 0x7000, v40
	v_add_co_ci_u32_e32 v14, vcc_lo, 0, v41, vcc_lo
	s_waitcnt vmcnt(10)
	global_store_b32 v[0:1], v12, off offset:1024
	s_waitcnt vmcnt(9)
	global_store_b32 v[0:1], v11, off offset:2048
	;; [unrolled: 2-line block ×6, first 2 shown]
	s_waitcnt vmcnt(4)
	global_store_b32 v[13:14], v5, off
	s_waitcnt vmcnt(3)
	global_store_b32 v[13:14], v4, off offset:1024
	s_waitcnt vmcnt(2)
	global_store_b32 v[13:14], v3, off offset:2048
	s_waitcnt vmcnt(1)
	global_store_b32 v[36:37], v29, off offset:-4096
	s_waitcnt vmcnt(0)
	global_store_b32 v[13:14], v2, off offset:3072
	s_nop 0
	s_sendmsg sendmsg(MSG_DEALLOC_VGPRS)
	s_endpgm
	.section	.rodata,"a",@progbits
	.p2align	6, 0x0
	.amdhsa_kernel _Z6kernelI14subtract_rightLj256ELj32ELb1EJPiS1_jEEvDpT3_
		.amdhsa_group_segment_fixed_size 2048
		.amdhsa_private_segment_fixed_size 0
		.amdhsa_kernarg_size 20
		.amdhsa_user_sgpr_count 15
		.amdhsa_user_sgpr_dispatch_ptr 0
		.amdhsa_user_sgpr_queue_ptr 0
		.amdhsa_user_sgpr_kernarg_segment_ptr 1
		.amdhsa_user_sgpr_dispatch_id 0
		.amdhsa_user_sgpr_private_segment_size 0
		.amdhsa_wavefront_size32 1
		.amdhsa_uses_dynamic_stack 0
		.amdhsa_enable_private_segment 0
		.amdhsa_system_sgpr_workgroup_id_x 1
		.amdhsa_system_sgpr_workgroup_id_y 0
		.amdhsa_system_sgpr_workgroup_id_z 0
		.amdhsa_system_sgpr_workgroup_info 0
		.amdhsa_system_vgpr_workitem_id 0
		.amdhsa_next_free_vgpr 66
		.amdhsa_next_free_sgpr 16
		.amdhsa_reserve_vcc 1
		.amdhsa_float_round_mode_32 0
		.amdhsa_float_round_mode_16_64 0
		.amdhsa_float_denorm_mode_32 3
		.amdhsa_float_denorm_mode_16_64 3
		.amdhsa_dx10_clamp 1
		.amdhsa_ieee_mode 1
		.amdhsa_fp16_overflow 0
		.amdhsa_workgroup_processor_mode 1
		.amdhsa_memory_ordered 1
		.amdhsa_forward_progress 0
		.amdhsa_shared_vgpr_count 0
		.amdhsa_exception_fp_ieee_invalid_op 0
		.amdhsa_exception_fp_denorm_src 0
		.amdhsa_exception_fp_ieee_div_zero 0
		.amdhsa_exception_fp_ieee_overflow 0
		.amdhsa_exception_fp_ieee_underflow 0
		.amdhsa_exception_fp_ieee_inexact 0
		.amdhsa_exception_int_div_zero 0
	.end_amdhsa_kernel
	.section	.text._Z6kernelI14subtract_rightLj256ELj32ELb1EJPiS1_jEEvDpT3_,"axG",@progbits,_Z6kernelI14subtract_rightLj256ELj32ELb1EJPiS1_jEEvDpT3_,comdat
.Lfunc_end95:
	.size	_Z6kernelI14subtract_rightLj256ELj32ELb1EJPiS1_jEEvDpT3_, .Lfunc_end95-_Z6kernelI14subtract_rightLj256ELj32ELb1EJPiS1_jEEvDpT3_
                                        ; -- End function
	.section	.AMDGPU.csdata,"",@progbits
; Kernel info:
; codeLenInByte = 1464
; NumSgprs: 18
; NumVgprs: 66
; ScratchSize: 0
; MemoryBound: 0
; FloatMode: 240
; IeeeMode: 1
; LDSByteSize: 2048 bytes/workgroup (compile time only)
; SGPRBlocks: 2
; VGPRBlocks: 8
; NumSGPRsForWavesPerEU: 18
; NumVGPRsForWavesPerEU: 66
; Occupancy: 16
; WaveLimiterHint : 1
; COMPUTE_PGM_RSRC2:SCRATCH_EN: 0
; COMPUTE_PGM_RSRC2:USER_SGPR: 15
; COMPUTE_PGM_RSRC2:TRAP_HANDLER: 0
; COMPUTE_PGM_RSRC2:TGID_X_EN: 1
; COMPUTE_PGM_RSRC2:TGID_Y_EN: 0
; COMPUTE_PGM_RSRC2:TGID_Z_EN: 0
; COMPUTE_PGM_RSRC2:TIDIG_COMP_CNT: 0
	.section	.text._Z6kernelI14subtract_rightLj256ELj1ELb1EJPfS1_jEEvDpT3_,"axG",@progbits,_Z6kernelI14subtract_rightLj256ELj1ELb1EJPfS1_jEEvDpT3_,comdat
	.protected	_Z6kernelI14subtract_rightLj256ELj1ELb1EJPfS1_jEEvDpT3_ ; -- Begin function _Z6kernelI14subtract_rightLj256ELj1ELb1EJPfS1_jEEvDpT3_
	.globl	_Z6kernelI14subtract_rightLj256ELj1ELb1EJPfS1_jEEvDpT3_
	.p2align	8
	.type	_Z6kernelI14subtract_rightLj256ELj1ELb1EJPfS1_jEEvDpT3_,@function
_Z6kernelI14subtract_rightLj256ELj1ELb1EJPfS1_jEEvDpT3_: ; @_Z6kernelI14subtract_rightLj256ELj1ELb1EJPfS1_jEEvDpT3_
; %bb.0:
	s_load_b128 s[4:7], s[0:1], 0x0
	s_lshl_b32 s2, s15, 8
	s_mov_b32 s3, 0
	v_lshlrev_b32_e32 v1, 2, v0
	s_lshl_b64 s[2:3], s[2:3], 2
	s_load_b32 s0, s[0:1], 0x10
	s_waitcnt lgkmcnt(0)
	s_add_u32 s4, s4, s2
	s_addc_u32 s5, s5, s3
	global_load_b32 v2, v1, s[4:5]
	s_cmp_eq_u32 s0, 0
	s_cbranch_scc1 .LBB96_5
; %bb.1:
	v_cmp_ne_u32_e32 vcc_lo, 0xff, v0
	v_or_b32_e32 v0, 0x400, v1
	s_branch .LBB96_3
	.p2align	6
.LBB96_2:                               ;   in Loop: Header=BB96_3 Depth=1
	s_or_b32 exec_lo, exec_lo, s1
	s_waitcnt lgkmcnt(0)
	v_sub_f32_e32 v3, v2, v3
	s_add_i32 s0, s0, -1
	s_delay_alu instid0(SALU_CYCLE_1) | instskip(SKIP_1) | instid1(VALU_DEP_1)
	s_cmp_lg_u32 s0, 0
	s_barrier
	v_add_f32_e32 v2, v2, v3
	buffer_gl0_inv
	s_cbranch_scc0 .LBB96_5
.LBB96_3:                               ; =>This Inner Loop Header: Depth=1
	v_mov_b32_e32 v3, 0x42f60000
	s_waitcnt vmcnt(0)
	ds_store_b32 v1, v2 offset:1024
	s_waitcnt lgkmcnt(0)
	s_barrier
	buffer_gl0_inv
	s_and_saveexec_b32 s1, vcc_lo
	s_cbranch_execz .LBB96_2
; %bb.4:                                ;   in Loop: Header=BB96_3 Depth=1
	ds_load_b32 v3, v0 offset:4
	s_branch .LBB96_2
.LBB96_5:
	s_add_u32 s0, s6, s2
	s_addc_u32 s1, s7, s3
	s_waitcnt vmcnt(0)
	global_store_b32 v1, v2, s[0:1]
	s_nop 0
	s_sendmsg sendmsg(MSG_DEALLOC_VGPRS)
	s_endpgm
	.section	.rodata,"a",@progbits
	.p2align	6, 0x0
	.amdhsa_kernel _Z6kernelI14subtract_rightLj256ELj1ELb1EJPfS1_jEEvDpT3_
		.amdhsa_group_segment_fixed_size 2048
		.amdhsa_private_segment_fixed_size 0
		.amdhsa_kernarg_size 20
		.amdhsa_user_sgpr_count 15
		.amdhsa_user_sgpr_dispatch_ptr 0
		.amdhsa_user_sgpr_queue_ptr 0
		.amdhsa_user_sgpr_kernarg_segment_ptr 1
		.amdhsa_user_sgpr_dispatch_id 0
		.amdhsa_user_sgpr_private_segment_size 0
		.amdhsa_wavefront_size32 1
		.amdhsa_uses_dynamic_stack 0
		.amdhsa_enable_private_segment 0
		.amdhsa_system_sgpr_workgroup_id_x 1
		.amdhsa_system_sgpr_workgroup_id_y 0
		.amdhsa_system_sgpr_workgroup_id_z 0
		.amdhsa_system_sgpr_workgroup_info 0
		.amdhsa_system_vgpr_workitem_id 0
		.amdhsa_next_free_vgpr 4
		.amdhsa_next_free_sgpr 16
		.amdhsa_reserve_vcc 1
		.amdhsa_float_round_mode_32 0
		.amdhsa_float_round_mode_16_64 0
		.amdhsa_float_denorm_mode_32 3
		.amdhsa_float_denorm_mode_16_64 3
		.amdhsa_dx10_clamp 1
		.amdhsa_ieee_mode 1
		.amdhsa_fp16_overflow 0
		.amdhsa_workgroup_processor_mode 1
		.amdhsa_memory_ordered 1
		.amdhsa_forward_progress 0
		.amdhsa_shared_vgpr_count 0
		.amdhsa_exception_fp_ieee_invalid_op 0
		.amdhsa_exception_fp_denorm_src 0
		.amdhsa_exception_fp_ieee_div_zero 0
		.amdhsa_exception_fp_ieee_overflow 0
		.amdhsa_exception_fp_ieee_underflow 0
		.amdhsa_exception_fp_ieee_inexact 0
		.amdhsa_exception_int_div_zero 0
	.end_amdhsa_kernel
	.section	.text._Z6kernelI14subtract_rightLj256ELj1ELb1EJPfS1_jEEvDpT3_,"axG",@progbits,_Z6kernelI14subtract_rightLj256ELj1ELb1EJPfS1_jEEvDpT3_,comdat
.Lfunc_end96:
	.size	_Z6kernelI14subtract_rightLj256ELj1ELb1EJPfS1_jEEvDpT3_, .Lfunc_end96-_Z6kernelI14subtract_rightLj256ELj1ELb1EJPfS1_jEEvDpT3_
                                        ; -- End function
	.section	.AMDGPU.csdata,"",@progbits
; Kernel info:
; codeLenInByte = 212
; NumSgprs: 18
; NumVgprs: 4
; ScratchSize: 0
; MemoryBound: 0
; FloatMode: 240
; IeeeMode: 1
; LDSByteSize: 2048 bytes/workgroup (compile time only)
; SGPRBlocks: 2
; VGPRBlocks: 0
; NumSGPRsForWavesPerEU: 18
; NumVGPRsForWavesPerEU: 4
; Occupancy: 16
; WaveLimiterHint : 0
; COMPUTE_PGM_RSRC2:SCRATCH_EN: 0
; COMPUTE_PGM_RSRC2:USER_SGPR: 15
; COMPUTE_PGM_RSRC2:TRAP_HANDLER: 0
; COMPUTE_PGM_RSRC2:TGID_X_EN: 1
; COMPUTE_PGM_RSRC2:TGID_Y_EN: 0
; COMPUTE_PGM_RSRC2:TGID_Z_EN: 0
; COMPUTE_PGM_RSRC2:TIDIG_COMP_CNT: 0
	.section	.text._Z6kernelI14subtract_rightLj256ELj3ELb1EJPfS1_jEEvDpT3_,"axG",@progbits,_Z6kernelI14subtract_rightLj256ELj3ELb1EJPfS1_jEEvDpT3_,comdat
	.protected	_Z6kernelI14subtract_rightLj256ELj3ELb1EJPfS1_jEEvDpT3_ ; -- Begin function _Z6kernelI14subtract_rightLj256ELj3ELb1EJPfS1_jEEvDpT3_
	.globl	_Z6kernelI14subtract_rightLj256ELj3ELb1EJPfS1_jEEvDpT3_
	.p2align	8
	.type	_Z6kernelI14subtract_rightLj256ELj3ELb1EJPfS1_jEEvDpT3_,@function
_Z6kernelI14subtract_rightLj256ELj3ELb1EJPfS1_jEEvDpT3_: ; @_Z6kernelI14subtract_rightLj256ELj3ELb1EJPfS1_jEEvDpT3_
; %bb.0:
	s_load_b128 s[4:7], s[0:1], 0x0
	s_mov_b32 s3, 0
	s_mul_i32 s2, s15, 0x300
	v_lshlrev_b32_e32 v1, 2, v0
	s_lshl_b64 s[2:3], s[2:3], 2
	s_load_b32 s0, s[0:1], 0x10
	s_waitcnt lgkmcnt(0)
	s_add_u32 s4, s4, s2
	s_addc_u32 s5, s5, s3
	s_clause 0x2
	global_load_b32 v4, v1, s[4:5]
	global_load_b32 v3, v1, s[4:5] offset:1024
	global_load_b32 v2, v1, s[4:5] offset:2048
	s_cmp_eq_u32 s0, 0
	s_cbranch_scc1 .LBB97_5
; %bb.1:
	v_cmp_ne_u32_e32 vcc_lo, 0xff, v0
	v_or_b32_e32 v0, 0x400, v1
	s_branch .LBB97_3
	.p2align	6
.LBB97_2:                               ;   in Loop: Header=BB97_3 Depth=1
	s_or_b32 exec_lo, exec_lo, s1
	v_dual_sub_f32 v6, v4, v3 :: v_dual_sub_f32 v7, v3, v2
	s_waitcnt lgkmcnt(0)
	v_sub_f32_e32 v5, v2, v5
	s_add_i32 s0, s0, -1
	s_delay_alu instid0(VALU_DEP_2) | instskip(NEXT) | instid1(VALU_DEP_2)
	v_dual_add_f32 v4, v4, v6 :: v_dual_add_f32 v3, v3, v7
	v_add_f32_e32 v2, v2, v5
	s_cmp_lg_u32 s0, 0
	s_barrier
	buffer_gl0_inv
	s_cbranch_scc0 .LBB97_5
.LBB97_3:                               ; =>This Inner Loop Header: Depth=1
	v_mov_b32_e32 v5, 0x42f60000
	s_waitcnt vmcnt(2)
	ds_store_b32 v1, v4 offset:1024
	s_waitcnt vmcnt(0) lgkmcnt(0)
	s_barrier
	buffer_gl0_inv
	s_and_saveexec_b32 s1, vcc_lo
	s_cbranch_execz .LBB97_2
; %bb.4:                                ;   in Loop: Header=BB97_3 Depth=1
	ds_load_b32 v5, v0 offset:4
	s_branch .LBB97_2
.LBB97_5:
	s_add_u32 s0, s6, s2
	s_addc_u32 s1, s7, s3
	s_waitcnt vmcnt(2)
	global_store_b32 v1, v4, s[0:1]
	s_waitcnt vmcnt(1)
	global_store_b32 v1, v3, s[0:1] offset:1024
	s_waitcnt vmcnt(0)
	global_store_b32 v1, v2, s[0:1] offset:2048
	s_nop 0
	s_sendmsg sendmsg(MSG_DEALLOC_VGPRS)
	s_endpgm
	.section	.rodata,"a",@progbits
	.p2align	6, 0x0
	.amdhsa_kernel _Z6kernelI14subtract_rightLj256ELj3ELb1EJPfS1_jEEvDpT3_
		.amdhsa_group_segment_fixed_size 2048
		.amdhsa_private_segment_fixed_size 0
		.amdhsa_kernarg_size 20
		.amdhsa_user_sgpr_count 15
		.amdhsa_user_sgpr_dispatch_ptr 0
		.amdhsa_user_sgpr_queue_ptr 0
		.amdhsa_user_sgpr_kernarg_segment_ptr 1
		.amdhsa_user_sgpr_dispatch_id 0
		.amdhsa_user_sgpr_private_segment_size 0
		.amdhsa_wavefront_size32 1
		.amdhsa_uses_dynamic_stack 0
		.amdhsa_enable_private_segment 0
		.amdhsa_system_sgpr_workgroup_id_x 1
		.amdhsa_system_sgpr_workgroup_id_y 0
		.amdhsa_system_sgpr_workgroup_id_z 0
		.amdhsa_system_sgpr_workgroup_info 0
		.amdhsa_system_vgpr_workitem_id 0
		.amdhsa_next_free_vgpr 8
		.amdhsa_next_free_sgpr 16
		.amdhsa_reserve_vcc 1
		.amdhsa_float_round_mode_32 0
		.amdhsa_float_round_mode_16_64 0
		.amdhsa_float_denorm_mode_32 3
		.amdhsa_float_denorm_mode_16_64 3
		.amdhsa_dx10_clamp 1
		.amdhsa_ieee_mode 1
		.amdhsa_fp16_overflow 0
		.amdhsa_workgroup_processor_mode 1
		.amdhsa_memory_ordered 1
		.amdhsa_forward_progress 0
		.amdhsa_shared_vgpr_count 0
		.amdhsa_exception_fp_ieee_invalid_op 0
		.amdhsa_exception_fp_denorm_src 0
		.amdhsa_exception_fp_ieee_div_zero 0
		.amdhsa_exception_fp_ieee_overflow 0
		.amdhsa_exception_fp_ieee_underflow 0
		.amdhsa_exception_fp_ieee_inexact 0
		.amdhsa_exception_int_div_zero 0
	.end_amdhsa_kernel
	.section	.text._Z6kernelI14subtract_rightLj256ELj3ELb1EJPfS1_jEEvDpT3_,"axG",@progbits,_Z6kernelI14subtract_rightLj256ELj3ELb1EJPfS1_jEEvDpT3_,comdat
.Lfunc_end97:
	.size	_Z6kernelI14subtract_rightLj256ELj3ELb1EJPfS1_jEEvDpT3_, .Lfunc_end97-_Z6kernelI14subtract_rightLj256ELj3ELb1EJPfS1_jEEvDpT3_
                                        ; -- End function
	.section	.AMDGPU.csdata,"",@progbits
; Kernel info:
; codeLenInByte = 276
; NumSgprs: 18
; NumVgprs: 8
; ScratchSize: 0
; MemoryBound: 0
; FloatMode: 240
; IeeeMode: 1
; LDSByteSize: 2048 bytes/workgroup (compile time only)
; SGPRBlocks: 2
; VGPRBlocks: 0
; NumSGPRsForWavesPerEU: 18
; NumVGPRsForWavesPerEU: 8
; Occupancy: 16
; WaveLimiterHint : 1
; COMPUTE_PGM_RSRC2:SCRATCH_EN: 0
; COMPUTE_PGM_RSRC2:USER_SGPR: 15
; COMPUTE_PGM_RSRC2:TRAP_HANDLER: 0
; COMPUTE_PGM_RSRC2:TGID_X_EN: 1
; COMPUTE_PGM_RSRC2:TGID_Y_EN: 0
; COMPUTE_PGM_RSRC2:TGID_Z_EN: 0
; COMPUTE_PGM_RSRC2:TIDIG_COMP_CNT: 0
	.section	.text._Z6kernelI14subtract_rightLj256ELj4ELb1EJPfS1_jEEvDpT3_,"axG",@progbits,_Z6kernelI14subtract_rightLj256ELj4ELb1EJPfS1_jEEvDpT3_,comdat
	.protected	_Z6kernelI14subtract_rightLj256ELj4ELb1EJPfS1_jEEvDpT3_ ; -- Begin function _Z6kernelI14subtract_rightLj256ELj4ELb1EJPfS1_jEEvDpT3_
	.globl	_Z6kernelI14subtract_rightLj256ELj4ELb1EJPfS1_jEEvDpT3_
	.p2align	8
	.type	_Z6kernelI14subtract_rightLj256ELj4ELb1EJPfS1_jEEvDpT3_,@function
_Z6kernelI14subtract_rightLj256ELj4ELb1EJPfS1_jEEvDpT3_: ; @_Z6kernelI14subtract_rightLj256ELj4ELb1EJPfS1_jEEvDpT3_
; %bb.0:
	s_load_b128 s[4:7], s[0:1], 0x0
	s_mov_b32 s3, 0
	s_lshl_b32 s2, s15, 10
	v_lshlrev_b32_e32 v1, 2, v0
	s_lshl_b64 s[2:3], s[2:3], 2
	s_load_b32 s0, s[0:1], 0x10
	s_waitcnt lgkmcnt(0)
	s_add_u32 s4, s4, s2
	s_addc_u32 s5, s5, s3
	s_clause 0x3
	global_load_b32 v5, v1, s[4:5]
	global_load_b32 v4, v1, s[4:5] offset:1024
	global_load_b32 v3, v1, s[4:5] offset:2048
	;; [unrolled: 1-line block ×3, first 2 shown]
	s_cmp_eq_u32 s0, 0
	s_cbranch_scc1 .LBB98_5
; %bb.1:
	v_cmp_ne_u32_e32 vcc_lo, 0xff, v0
	v_or_b32_e32 v0, 0x400, v1
	s_branch .LBB98_3
	.p2align	6
.LBB98_2:                               ;   in Loop: Header=BB98_3 Depth=1
	s_or_b32 exec_lo, exec_lo, s1
	v_dual_sub_f32 v7, v5, v4 :: v_dual_sub_f32 v8, v4, v3
	v_sub_f32_e32 v9, v3, v2
	s_waitcnt lgkmcnt(0)
	v_sub_f32_e32 v6, v2, v6
	s_add_i32 s0, s0, -1
	v_dual_add_f32 v5, v5, v7 :: v_dual_add_f32 v4, v4, v8
	s_delay_alu instid0(VALU_DEP_2)
	v_dual_add_f32 v3, v3, v9 :: v_dual_add_f32 v2, v2, v6
	s_cmp_lg_u32 s0, 0
	s_barrier
	buffer_gl0_inv
	s_cbranch_scc0 .LBB98_5
.LBB98_3:                               ; =>This Inner Loop Header: Depth=1
	v_mov_b32_e32 v6, 0x42f60000
	s_waitcnt vmcnt(3)
	ds_store_b32 v1, v5 offset:1024
	s_waitcnt vmcnt(0) lgkmcnt(0)
	s_barrier
	buffer_gl0_inv
	s_and_saveexec_b32 s1, vcc_lo
	s_cbranch_execz .LBB98_2
; %bb.4:                                ;   in Loop: Header=BB98_3 Depth=1
	ds_load_b32 v6, v0 offset:4
	s_branch .LBB98_2
.LBB98_5:
	s_add_u32 s0, s6, s2
	s_addc_u32 s1, s7, s3
	s_waitcnt vmcnt(3)
	global_store_b32 v1, v5, s[0:1]
	s_waitcnt vmcnt(2)
	global_store_b32 v1, v4, s[0:1] offset:1024
	s_waitcnt vmcnt(1)
	global_store_b32 v1, v3, s[0:1] offset:2048
	;; [unrolled: 2-line block ×3, first 2 shown]
	s_nop 0
	s_sendmsg sendmsg(MSG_DEALLOC_VGPRS)
	s_endpgm
	.section	.rodata,"a",@progbits
	.p2align	6, 0x0
	.amdhsa_kernel _Z6kernelI14subtract_rightLj256ELj4ELb1EJPfS1_jEEvDpT3_
		.amdhsa_group_segment_fixed_size 2048
		.amdhsa_private_segment_fixed_size 0
		.amdhsa_kernarg_size 20
		.amdhsa_user_sgpr_count 15
		.amdhsa_user_sgpr_dispatch_ptr 0
		.amdhsa_user_sgpr_queue_ptr 0
		.amdhsa_user_sgpr_kernarg_segment_ptr 1
		.amdhsa_user_sgpr_dispatch_id 0
		.amdhsa_user_sgpr_private_segment_size 0
		.amdhsa_wavefront_size32 1
		.amdhsa_uses_dynamic_stack 0
		.amdhsa_enable_private_segment 0
		.amdhsa_system_sgpr_workgroup_id_x 1
		.amdhsa_system_sgpr_workgroup_id_y 0
		.amdhsa_system_sgpr_workgroup_id_z 0
		.amdhsa_system_sgpr_workgroup_info 0
		.amdhsa_system_vgpr_workitem_id 0
		.amdhsa_next_free_vgpr 10
		.amdhsa_next_free_sgpr 16
		.amdhsa_reserve_vcc 1
		.amdhsa_float_round_mode_32 0
		.amdhsa_float_round_mode_16_64 0
		.amdhsa_float_denorm_mode_32 3
		.amdhsa_float_denorm_mode_16_64 3
		.amdhsa_dx10_clamp 1
		.amdhsa_ieee_mode 1
		.amdhsa_fp16_overflow 0
		.amdhsa_workgroup_processor_mode 1
		.amdhsa_memory_ordered 1
		.amdhsa_forward_progress 0
		.amdhsa_shared_vgpr_count 0
		.amdhsa_exception_fp_ieee_invalid_op 0
		.amdhsa_exception_fp_denorm_src 0
		.amdhsa_exception_fp_ieee_div_zero 0
		.amdhsa_exception_fp_ieee_overflow 0
		.amdhsa_exception_fp_ieee_underflow 0
		.amdhsa_exception_fp_ieee_inexact 0
		.amdhsa_exception_int_div_zero 0
	.end_amdhsa_kernel
	.section	.text._Z6kernelI14subtract_rightLj256ELj4ELb1EJPfS1_jEEvDpT3_,"axG",@progbits,_Z6kernelI14subtract_rightLj256ELj4ELb1EJPfS1_jEEvDpT3_,comdat
.Lfunc_end98:
	.size	_Z6kernelI14subtract_rightLj256ELj4ELb1EJPfS1_jEEvDpT3_, .Lfunc_end98-_Z6kernelI14subtract_rightLj256ELj4ELb1EJPfS1_jEEvDpT3_
                                        ; -- End function
	.section	.AMDGPU.csdata,"",@progbits
; Kernel info:
; codeLenInByte = 300
; NumSgprs: 18
; NumVgprs: 10
; ScratchSize: 0
; MemoryBound: 0
; FloatMode: 240
; IeeeMode: 1
; LDSByteSize: 2048 bytes/workgroup (compile time only)
; SGPRBlocks: 2
; VGPRBlocks: 1
; NumSGPRsForWavesPerEU: 18
; NumVGPRsForWavesPerEU: 10
; Occupancy: 16
; WaveLimiterHint : 1
; COMPUTE_PGM_RSRC2:SCRATCH_EN: 0
; COMPUTE_PGM_RSRC2:USER_SGPR: 15
; COMPUTE_PGM_RSRC2:TRAP_HANDLER: 0
; COMPUTE_PGM_RSRC2:TGID_X_EN: 1
; COMPUTE_PGM_RSRC2:TGID_Y_EN: 0
; COMPUTE_PGM_RSRC2:TGID_Z_EN: 0
; COMPUTE_PGM_RSRC2:TIDIG_COMP_CNT: 0
	.section	.text._Z6kernelI14subtract_rightLj256ELj8ELb1EJPfS1_jEEvDpT3_,"axG",@progbits,_Z6kernelI14subtract_rightLj256ELj8ELb1EJPfS1_jEEvDpT3_,comdat
	.protected	_Z6kernelI14subtract_rightLj256ELj8ELb1EJPfS1_jEEvDpT3_ ; -- Begin function _Z6kernelI14subtract_rightLj256ELj8ELb1EJPfS1_jEEvDpT3_
	.globl	_Z6kernelI14subtract_rightLj256ELj8ELb1EJPfS1_jEEvDpT3_
	.p2align	8
	.type	_Z6kernelI14subtract_rightLj256ELj8ELb1EJPfS1_jEEvDpT3_,@function
_Z6kernelI14subtract_rightLj256ELj8ELb1EJPfS1_jEEvDpT3_: ; @_Z6kernelI14subtract_rightLj256ELj8ELb1EJPfS1_jEEvDpT3_
; %bb.0:
	s_load_b128 s[4:7], s[0:1], 0x0
	s_mov_b32 s3, 0
	s_lshl_b32 s2, s15, 11
	v_lshlrev_b32_e32 v1, 2, v0
	s_lshl_b64 s[2:3], s[2:3], 2
	s_load_b32 s0, s[0:1], 0x10
	s_waitcnt lgkmcnt(0)
	s_add_u32 s4, s4, s2
	s_addc_u32 s5, s5, s3
	v_add_co_u32 v2, s1, s4, v1
	s_delay_alu instid0(VALU_DEP_1) | instskip(SKIP_1) | instid1(VALU_DEP_2)
	v_add_co_ci_u32_e64 v3, null, s5, 0, s1
	s_cmp_eq_u32 s0, 0
	v_add_co_u32 v10, vcc_lo, 0x1000, v2
	s_delay_alu instid0(VALU_DEP_2)
	v_add_co_ci_u32_e32 v11, vcc_lo, 0, v3, vcc_lo
	s_clause 0x7
	global_load_b32 v9, v1, s[4:5]
	global_load_b32 v8, v1, s[4:5] offset:1024
	global_load_b32 v7, v1, s[4:5] offset:2048
	;; [unrolled: 1-line block ×3, first 2 shown]
	global_load_b32 v5, v[10:11], off
	global_load_b32 v4, v[10:11], off offset:1024
	global_load_b32 v3, v[10:11], off offset:2048
	;; [unrolled: 1-line block ×3, first 2 shown]
	s_cbranch_scc1 .LBB99_5
; %bb.1:
	v_cmp_ne_u32_e32 vcc_lo, 0xff, v0
	v_or_b32_e32 v0, 0x400, v1
	s_set_inst_prefetch_distance 0x1
	s_branch .LBB99_3
	.p2align	6
.LBB99_2:                               ;   in Loop: Header=BB99_3 Depth=1
	s_or_b32 exec_lo, exec_lo, s1
	v_dual_sub_f32 v11, v9, v8 :: v_dual_sub_f32 v12, v8, v7
	v_dual_sub_f32 v13, v7, v6 :: v_dual_sub_f32 v14, v6, v5
	v_dual_sub_f32 v15, v5, v4 :: v_dual_sub_f32 v16, v4, v3
	s_delay_alu instid0(VALU_DEP_3) | instskip(SKIP_4) | instid1(VALU_DEP_3)
	v_dual_sub_f32 v17, v3, v2 :: v_dual_add_f32 v8, v8, v12
	s_waitcnt lgkmcnt(0)
	v_dual_sub_f32 v10, v2, v10 :: v_dual_add_f32 v9, v9, v11
	v_dual_add_f32 v7, v7, v13 :: v_dual_add_f32 v6, v6, v14
	v_dual_add_f32 v5, v5, v15 :: v_dual_add_f32 v4, v4, v16
	;; [unrolled: 1-line block ×3, first 2 shown]
	s_add_i32 s0, s0, -1
	s_delay_alu instid0(SALU_CYCLE_1)
	s_cmp_lg_u32 s0, 0
	s_barrier
	buffer_gl0_inv
	s_cbranch_scc0 .LBB99_5
.LBB99_3:                               ; =>This Inner Loop Header: Depth=1
	v_mov_b32_e32 v10, 0x42f60000
	s_waitcnt vmcnt(7)
	ds_store_b32 v1, v9 offset:1024
	s_waitcnt vmcnt(0) lgkmcnt(0)
	s_barrier
	buffer_gl0_inv
	s_and_saveexec_b32 s1, vcc_lo
	s_cbranch_execz .LBB99_2
; %bb.4:                                ;   in Loop: Header=BB99_3 Depth=1
	ds_load_b32 v10, v0 offset:4
	s_branch .LBB99_2
.LBB99_5:
	s_set_inst_prefetch_distance 0x2
	s_add_u32 s0, s6, s2
	s_addc_u32 s1, s7, s3
	v_add_co_u32 v0, s2, s0, v1
	s_delay_alu instid0(VALU_DEP_1) | instskip(NEXT) | instid1(VALU_DEP_2)
	v_add_co_ci_u32_e64 v11, null, s1, 0, s2
	v_add_co_u32 v10, vcc_lo, 0x1000, v0
	s_delay_alu instid0(VALU_DEP_2)
	v_add_co_ci_u32_e32 v11, vcc_lo, 0, v11, vcc_lo
	s_waitcnt vmcnt(7)
	global_store_b32 v1, v9, s[0:1]
	s_waitcnt vmcnt(6)
	global_store_b32 v1, v8, s[0:1] offset:1024
	s_waitcnt vmcnt(5)
	global_store_b32 v1, v7, s[0:1] offset:2048
	;; [unrolled: 2-line block ×3, first 2 shown]
	s_waitcnt vmcnt(3)
	global_store_b32 v[10:11], v5, off
	s_waitcnt vmcnt(2)
	global_store_b32 v[10:11], v4, off offset:1024
	s_waitcnt vmcnt(1)
	global_store_b32 v[10:11], v3, off offset:2048
	;; [unrolled: 2-line block ×3, first 2 shown]
	s_nop 0
	s_sendmsg sendmsg(MSG_DEALLOC_VGPRS)
	s_endpgm
	.section	.rodata,"a",@progbits
	.p2align	6, 0x0
	.amdhsa_kernel _Z6kernelI14subtract_rightLj256ELj8ELb1EJPfS1_jEEvDpT3_
		.amdhsa_group_segment_fixed_size 2048
		.amdhsa_private_segment_fixed_size 0
		.amdhsa_kernarg_size 20
		.amdhsa_user_sgpr_count 15
		.amdhsa_user_sgpr_dispatch_ptr 0
		.amdhsa_user_sgpr_queue_ptr 0
		.amdhsa_user_sgpr_kernarg_segment_ptr 1
		.amdhsa_user_sgpr_dispatch_id 0
		.amdhsa_user_sgpr_private_segment_size 0
		.amdhsa_wavefront_size32 1
		.amdhsa_uses_dynamic_stack 0
		.amdhsa_enable_private_segment 0
		.amdhsa_system_sgpr_workgroup_id_x 1
		.amdhsa_system_sgpr_workgroup_id_y 0
		.amdhsa_system_sgpr_workgroup_id_z 0
		.amdhsa_system_sgpr_workgroup_info 0
		.amdhsa_system_vgpr_workitem_id 0
		.amdhsa_next_free_vgpr 18
		.amdhsa_next_free_sgpr 16
		.amdhsa_reserve_vcc 1
		.amdhsa_float_round_mode_32 0
		.amdhsa_float_round_mode_16_64 0
		.amdhsa_float_denorm_mode_32 3
		.amdhsa_float_denorm_mode_16_64 3
		.amdhsa_dx10_clamp 1
		.amdhsa_ieee_mode 1
		.amdhsa_fp16_overflow 0
		.amdhsa_workgroup_processor_mode 1
		.amdhsa_memory_ordered 1
		.amdhsa_forward_progress 0
		.amdhsa_shared_vgpr_count 0
		.amdhsa_exception_fp_ieee_invalid_op 0
		.amdhsa_exception_fp_denorm_src 0
		.amdhsa_exception_fp_ieee_div_zero 0
		.amdhsa_exception_fp_ieee_overflow 0
		.amdhsa_exception_fp_ieee_underflow 0
		.amdhsa_exception_fp_ieee_inexact 0
		.amdhsa_exception_int_div_zero 0
	.end_amdhsa_kernel
	.section	.text._Z6kernelI14subtract_rightLj256ELj8ELb1EJPfS1_jEEvDpT3_,"axG",@progbits,_Z6kernelI14subtract_rightLj256ELj8ELb1EJPfS1_jEEvDpT3_,comdat
.Lfunc_end99:
	.size	_Z6kernelI14subtract_rightLj256ELj8ELb1EJPfS1_jEEvDpT3_, .Lfunc_end99-_Z6kernelI14subtract_rightLj256ELj8ELb1EJPfS1_jEEvDpT3_
                                        ; -- End function
	.section	.AMDGPU.csdata,"",@progbits
; Kernel info:
; codeLenInByte = 504
; NumSgprs: 18
; NumVgprs: 18
; ScratchSize: 0
; MemoryBound: 0
; FloatMode: 240
; IeeeMode: 1
; LDSByteSize: 2048 bytes/workgroup (compile time only)
; SGPRBlocks: 2
; VGPRBlocks: 2
; NumSGPRsForWavesPerEU: 18
; NumVGPRsForWavesPerEU: 18
; Occupancy: 16
; WaveLimiterHint : 1
; COMPUTE_PGM_RSRC2:SCRATCH_EN: 0
; COMPUTE_PGM_RSRC2:USER_SGPR: 15
; COMPUTE_PGM_RSRC2:TRAP_HANDLER: 0
; COMPUTE_PGM_RSRC2:TGID_X_EN: 1
; COMPUTE_PGM_RSRC2:TGID_Y_EN: 0
; COMPUTE_PGM_RSRC2:TGID_Z_EN: 0
; COMPUTE_PGM_RSRC2:TIDIG_COMP_CNT: 0
	.section	.text._Z6kernelI14subtract_rightLj256ELj16ELb1EJPfS1_jEEvDpT3_,"axG",@progbits,_Z6kernelI14subtract_rightLj256ELj16ELb1EJPfS1_jEEvDpT3_,comdat
	.protected	_Z6kernelI14subtract_rightLj256ELj16ELb1EJPfS1_jEEvDpT3_ ; -- Begin function _Z6kernelI14subtract_rightLj256ELj16ELb1EJPfS1_jEEvDpT3_
	.globl	_Z6kernelI14subtract_rightLj256ELj16ELb1EJPfS1_jEEvDpT3_
	.p2align	8
	.type	_Z6kernelI14subtract_rightLj256ELj16ELb1EJPfS1_jEEvDpT3_,@function
_Z6kernelI14subtract_rightLj256ELj16ELb1EJPfS1_jEEvDpT3_: ; @_Z6kernelI14subtract_rightLj256ELj16ELb1EJPfS1_jEEvDpT3_
; %bb.0:
	s_load_b128 s[4:7], s[0:1], 0x0
	s_mov_b32 s3, 0
	s_lshl_b32 s2, s15, 12
	v_lshlrev_b32_e32 v1, 2, v0
	s_lshl_b64 s[2:3], s[2:3], 2
	s_load_b32 s0, s[0:1], 0x10
	s_waitcnt lgkmcnt(0)
	s_add_u32 s4, s4, s2
	s_addc_u32 s5, s5, s3
	v_add_co_u32 v6, s1, s4, v1
	s_delay_alu instid0(VALU_DEP_1) | instskip(SKIP_1) | instid1(VALU_DEP_2)
	v_add_co_ci_u32_e64 v7, null, s5, 0, s1
	s_cmp_eq_u32 s0, 0
	v_add_co_u32 v2, vcc_lo, 0x1000, v6
	s_delay_alu instid0(VALU_DEP_2)
	v_add_co_ci_u32_e32 v3, vcc_lo, 0, v7, vcc_lo
	v_add_co_u32 v18, vcc_lo, v6, 0x2000
	v_add_co_ci_u32_e32 v19, vcc_lo, 0, v7, vcc_lo
	v_add_co_u32 v4, vcc_lo, 0x2000, v6
	v_add_co_ci_u32_e32 v5, vcc_lo, 0, v7, vcc_lo
	v_add_co_u32 v20, vcc_lo, 0x3000, v6
	v_add_co_ci_u32_e32 v21, vcc_lo, 0, v7, vcc_lo
	s_clause 0xf
	global_load_b32 v17, v[18:19], off
	global_load_b32 v16, v1, s[4:5]
	global_load_b32 v15, v1, s[4:5] offset:1024
	global_load_b32 v14, v1, s[4:5] offset:2048
	;; [unrolled: 1-line block ×3, first 2 shown]
	global_load_b32 v11, v[2:3], off offset:1024
	global_load_b32 v10, v[2:3], off offset:2048
	;; [unrolled: 1-line block ×6, first 2 shown]
	global_load_b32 v5, v[20:21], off
	global_load_b32 v4, v[20:21], off offset:1024
	global_load_b32 v3, v[20:21], off offset:2048
	global_load_b32 v12, v[18:19], off offset:-4096
	global_load_b32 v2, v[20:21], off offset:3072
	s_cbranch_scc1 .LBB100_5
; %bb.1:
	v_cmp_ne_u32_e32 vcc_lo, 0xff, v0
	v_or_b32_e32 v0, 0x400, v1
	s_set_inst_prefetch_distance 0x1
	s_branch .LBB100_3
	.p2align	6
.LBB100_2:                              ;   in Loop: Header=BB100_3 Depth=1
	s_or_b32 exec_lo, exec_lo, s1
	v_dual_sub_f32 v19, v16, v15 :: v_dual_sub_f32 v20, v15, v14
	v_dual_sub_f32 v21, v14, v13 :: v_dual_sub_f32 v22, v13, v12
	;; [unrolled: 1-line block ×7, first 2 shown]
	v_dual_sub_f32 v33, v3, v2 :: v_dual_add_f32 v16, v16, v19
	s_waitcnt lgkmcnt(0)
	v_dual_sub_f32 v18, v2, v18 :: v_dual_add_f32 v15, v15, v20
	v_dual_add_f32 v14, v14, v21 :: v_dual_add_f32 v13, v13, v22
	v_dual_add_f32 v12, v12, v23 :: v_dual_add_f32 v11, v11, v24
	;; [unrolled: 1-line block ×7, first 2 shown]
	s_add_i32 s0, s0, -1
	s_delay_alu instid0(SALU_CYCLE_1)
	s_cmp_lg_u32 s0, 0
	s_barrier
	buffer_gl0_inv
	s_cbranch_scc0 .LBB100_5
.LBB100_3:                              ; =>This Inner Loop Header: Depth=1
	v_mov_b32_e32 v18, 0x42f60000
	s_waitcnt vmcnt(14)
	ds_store_b32 v1, v16 offset:1024
	s_waitcnt vmcnt(0) lgkmcnt(0)
	s_barrier
	buffer_gl0_inv
	s_and_saveexec_b32 s1, vcc_lo
	s_cbranch_execz .LBB100_2
; %bb.4:                                ;   in Loop: Header=BB100_3 Depth=1
	ds_load_b32 v18, v0 offset:4
	s_branch .LBB100_2
.LBB100_5:
	s_set_inst_prefetch_distance 0x2
	s_add_u32 s0, s6, s2
	s_addc_u32 s1, s7, s3
	v_add_co_u32 v0, s2, s0, v1
	s_delay_alu instid0(VALU_DEP_1) | instskip(NEXT) | instid1(VALU_DEP_2)
	v_add_co_ci_u32_e64 v25, null, s1, 0, s2
	v_add_co_u32 v18, vcc_lo, 0x1000, v0
	s_delay_alu instid0(VALU_DEP_2)
	v_add_co_ci_u32_e32 v19, vcc_lo, 0, v25, vcc_lo
	v_add_co_u32 v20, vcc_lo, v0, 0x2000
	v_add_co_ci_u32_e32 v21, vcc_lo, 0, v25, vcc_lo
	v_add_co_u32 v22, vcc_lo, 0x2000, v0
	;; [unrolled: 2-line block ×3, first 2 shown]
	s_waitcnt vmcnt(15)
	global_store_b32 v[20:21], v17, off
	v_add_co_ci_u32_e32 v25, vcc_lo, 0, v25, vcc_lo
	s_waitcnt vmcnt(14)
	global_store_b32 v1, v16, s[0:1]
	s_waitcnt vmcnt(13)
	global_store_b32 v1, v15, s[0:1] offset:1024
	s_waitcnt vmcnt(12)
	global_store_b32 v1, v14, s[0:1] offset:2048
	;; [unrolled: 2-line block ×3, first 2 shown]
	s_waitcnt vmcnt(10)
	global_store_b32 v[18:19], v11, off offset:1024
	s_waitcnt vmcnt(9)
	global_store_b32 v[18:19], v10, off offset:2048
	;; [unrolled: 2-line block ×6, first 2 shown]
	s_waitcnt vmcnt(4)
	global_store_b32 v[24:25], v5, off
	s_waitcnt vmcnt(3)
	global_store_b32 v[24:25], v4, off offset:1024
	s_waitcnt vmcnt(2)
	global_store_b32 v[24:25], v3, off offset:2048
	s_waitcnt vmcnt(1)
	global_store_b32 v[20:21], v12, off offset:-4096
	s_waitcnt vmcnt(0)
	global_store_b32 v[24:25], v2, off offset:3072
	s_nop 0
	s_sendmsg sendmsg(MSG_DEALLOC_VGPRS)
	s_endpgm
	.section	.rodata,"a",@progbits
	.p2align	6, 0x0
	.amdhsa_kernel _Z6kernelI14subtract_rightLj256ELj16ELb1EJPfS1_jEEvDpT3_
		.amdhsa_group_segment_fixed_size 2048
		.amdhsa_private_segment_fixed_size 0
		.amdhsa_kernarg_size 20
		.amdhsa_user_sgpr_count 15
		.amdhsa_user_sgpr_dispatch_ptr 0
		.amdhsa_user_sgpr_queue_ptr 0
		.amdhsa_user_sgpr_kernarg_segment_ptr 1
		.amdhsa_user_sgpr_dispatch_id 0
		.amdhsa_user_sgpr_private_segment_size 0
		.amdhsa_wavefront_size32 1
		.amdhsa_uses_dynamic_stack 0
		.amdhsa_enable_private_segment 0
		.amdhsa_system_sgpr_workgroup_id_x 1
		.amdhsa_system_sgpr_workgroup_id_y 0
		.amdhsa_system_sgpr_workgroup_id_z 0
		.amdhsa_system_sgpr_workgroup_info 0
		.amdhsa_system_vgpr_workitem_id 0
		.amdhsa_next_free_vgpr 34
		.amdhsa_next_free_sgpr 16
		.amdhsa_reserve_vcc 1
		.amdhsa_float_round_mode_32 0
		.amdhsa_float_round_mode_16_64 0
		.amdhsa_float_denorm_mode_32 3
		.amdhsa_float_denorm_mode_16_64 3
		.amdhsa_dx10_clamp 1
		.amdhsa_ieee_mode 1
		.amdhsa_fp16_overflow 0
		.amdhsa_workgroup_processor_mode 1
		.amdhsa_memory_ordered 1
		.amdhsa_forward_progress 0
		.amdhsa_shared_vgpr_count 0
		.amdhsa_exception_fp_ieee_invalid_op 0
		.amdhsa_exception_fp_denorm_src 0
		.amdhsa_exception_fp_ieee_div_zero 0
		.amdhsa_exception_fp_ieee_overflow 0
		.amdhsa_exception_fp_ieee_underflow 0
		.amdhsa_exception_fp_ieee_inexact 0
		.amdhsa_exception_int_div_zero 0
	.end_amdhsa_kernel
	.section	.text._Z6kernelI14subtract_rightLj256ELj16ELb1EJPfS1_jEEvDpT3_,"axG",@progbits,_Z6kernelI14subtract_rightLj256ELj16ELb1EJPfS1_jEEvDpT3_,comdat
.Lfunc_end100:
	.size	_Z6kernelI14subtract_rightLj256ELj16ELb1EJPfS1_jEEvDpT3_, .Lfunc_end100-_Z6kernelI14subtract_rightLj256ELj16ELb1EJPfS1_jEEvDpT3_
                                        ; -- End function
	.section	.AMDGPU.csdata,"",@progbits
; Kernel info:
; codeLenInByte = 820
; NumSgprs: 18
; NumVgprs: 34
; ScratchSize: 0
; MemoryBound: 0
; FloatMode: 240
; IeeeMode: 1
; LDSByteSize: 2048 bytes/workgroup (compile time only)
; SGPRBlocks: 2
; VGPRBlocks: 4
; NumSGPRsForWavesPerEU: 18
; NumVGPRsForWavesPerEU: 34
; Occupancy: 16
; WaveLimiterHint : 1
; COMPUTE_PGM_RSRC2:SCRATCH_EN: 0
; COMPUTE_PGM_RSRC2:USER_SGPR: 15
; COMPUTE_PGM_RSRC2:TRAP_HANDLER: 0
; COMPUTE_PGM_RSRC2:TGID_X_EN: 1
; COMPUTE_PGM_RSRC2:TGID_Y_EN: 0
; COMPUTE_PGM_RSRC2:TGID_Z_EN: 0
; COMPUTE_PGM_RSRC2:TIDIG_COMP_CNT: 0
	.section	.text._Z6kernelI14subtract_rightLj256ELj32ELb1EJPfS1_jEEvDpT3_,"axG",@progbits,_Z6kernelI14subtract_rightLj256ELj32ELb1EJPfS1_jEEvDpT3_,comdat
	.protected	_Z6kernelI14subtract_rightLj256ELj32ELb1EJPfS1_jEEvDpT3_ ; -- Begin function _Z6kernelI14subtract_rightLj256ELj32ELb1EJPfS1_jEEvDpT3_
	.globl	_Z6kernelI14subtract_rightLj256ELj32ELb1EJPfS1_jEEvDpT3_
	.p2align	8
	.type	_Z6kernelI14subtract_rightLj256ELj32ELb1EJPfS1_jEEvDpT3_,@function
_Z6kernelI14subtract_rightLj256ELj32ELb1EJPfS1_jEEvDpT3_: ; @_Z6kernelI14subtract_rightLj256ELj32ELb1EJPfS1_jEEvDpT3_
; %bb.0:
	s_load_b128 s[4:7], s[0:1], 0x0
	s_mov_b32 s3, 0
	s_lshl_b32 s2, s15, 13
	v_lshlrev_b32_e32 v1, 2, v0
	s_lshl_b64 s[2:3], s[2:3], 2
	s_load_b32 s0, s[0:1], 0x10
	s_waitcnt lgkmcnt(0)
	s_add_u32 s4, s4, s2
	s_addc_u32 s5, s5, s3
	v_add_co_u32 v10, s1, s4, v1
	s_delay_alu instid0(VALU_DEP_1) | instskip(SKIP_1) | instid1(VALU_DEP_2)
	v_add_co_ci_u32_e64 v11, null, s5, 0, s1
	s_cmp_eq_u32 s0, 0
	v_add_co_u32 v2, vcc_lo, 0x1000, v10
	s_delay_alu instid0(VALU_DEP_2)
	v_add_co_ci_u32_e32 v3, vcc_lo, 0, v11, vcc_lo
	v_add_co_u32 v34, vcc_lo, v10, 0x2000
	v_add_co_ci_u32_e32 v35, vcc_lo, 0, v11, vcc_lo
	v_add_co_u32 v4, vcc_lo, 0x2000, v10
	v_add_co_ci_u32_e32 v5, vcc_lo, 0, v11, vcc_lo
	s_clause 0x7
	global_load_b32 v33, v1, s[4:5]
	global_load_b32 v32, v1, s[4:5] offset:1024
	global_load_b32 v31, v1, s[4:5] offset:2048
	;; [unrolled: 1-line block ×3, first 2 shown]
	global_load_b32 v28, v[2:3], off offset:1024
	global_load_b32 v27, v[2:3], off offset:2048
	;; [unrolled: 1-line block ×4, first 2 shown]
	v_add_co_u32 v2, vcc_lo, 0x3000, v10
	v_add_co_ci_u32_e32 v3, vcc_lo, 0, v11, vcc_lo
	v_add_co_u32 v6, vcc_lo, v10, 0x4000
	v_add_co_ci_u32_e32 v7, vcc_lo, 0, v11, vcc_lo
	;; [unrolled: 2-line block ×3, first 2 shown]
	s_clause 0x7
	global_load_b32 v23, v[4:5], off offset:2048
	global_load_b32 v22, v[4:5], off offset:3072
	global_load_b32 v20, v[2:3], off offset:1024
	global_load_b32 v19, v[2:3], off offset:2048
	global_load_b32 v18, v[2:3], off offset:3072
	global_load_b32 v16, v[8:9], off offset:1024
	global_load_b32 v15, v[8:9], off offset:2048
	global_load_b32 v14, v[8:9], off offset:3072
	v_add_co_u32 v2, vcc_lo, 0x5000, v10
	v_add_co_ci_u32_e32 v3, vcc_lo, 0, v11, vcc_lo
	v_add_co_u32 v4, vcc_lo, v10, 0x6000
	v_add_co_ci_u32_e32 v5, vcc_lo, 0, v11, vcc_lo
	;; [unrolled: 2-line block ×3, first 2 shown]
	v_add_co_u32 v38, vcc_lo, 0x7000, v10
	s_clause 0x4
	global_load_b32 v25, v[34:35], off
	global_load_b32 v21, v[6:7], off offset:-4096
	global_load_b32 v17, v[6:7], off
	global_load_b32 v13, v[4:5], off offset:-4096
	global_load_b32 v9, v[4:5], off
	v_add_co_ci_u32_e32 v39, vcc_lo, 0, v11, vcc_lo
	s_clause 0xa
	global_load_b32 v12, v[2:3], off offset:1024
	global_load_b32 v11, v[2:3], off offset:2048
	;; [unrolled: 1-line block ×6, first 2 shown]
	global_load_b32 v5, v[38:39], off
	global_load_b32 v4, v[38:39], off offset:1024
	global_load_b32 v3, v[38:39], off offset:2048
	global_load_b32 v29, v[34:35], off offset:-4096
	global_load_b32 v2, v[38:39], off offset:3072
	s_cbranch_scc1 .LBB101_5
; %bb.1:
	v_cmp_ne_u32_e32 vcc_lo, 0xff, v0
	v_or_b32_e32 v0, 0x400, v1
	s_branch .LBB101_3
.LBB101_2:                              ;   in Loop: Header=BB101_3 Depth=1
	s_or_b32 exec_lo, exec_lo, s1
	v_dual_sub_f32 v35, v33, v32 :: v_dual_sub_f32 v36, v32, v31
	v_dual_sub_f32 v37, v31, v30 :: v_dual_sub_f32 v38, v30, v29
	;; [unrolled: 1-line block ×15, first 2 shown]
	v_dual_sub_f32 v65, v3, v2 :: v_dual_add_f32 v32, v32, v36
	s_waitcnt lgkmcnt(0)
	v_dual_sub_f32 v34, v2, v34 :: v_dual_add_f32 v33, v33, v35
	v_dual_add_f32 v31, v31, v37 :: v_dual_add_f32 v30, v30, v38
	v_dual_add_f32 v29, v29, v39 :: v_dual_add_f32 v28, v28, v40
	;; [unrolled: 1-line block ×15, first 2 shown]
	s_add_i32 s0, s0, -1
	s_delay_alu instid0(SALU_CYCLE_1)
	s_cmp_lg_u32 s0, 0
	s_barrier
	buffer_gl0_inv
	s_cbranch_scc0 .LBB101_5
.LBB101_3:                              ; =>This Inner Loop Header: Depth=1
	v_mov_b32_e32 v34, 0x42f60000
	s_waitcnt vmcnt(31)
	ds_store_b32 v1, v33 offset:1024
	s_waitcnt vmcnt(0) lgkmcnt(0)
	s_barrier
	buffer_gl0_inv
	s_and_saveexec_b32 s1, vcc_lo
	s_cbranch_execz .LBB101_2
; %bb.4:                                ;   in Loop: Header=BB101_3 Depth=1
	ds_load_b32 v34, v0 offset:4
	s_branch .LBB101_2
.LBB101_5:
	s_add_u32 s0, s6, s2
	s_addc_u32 s1, s7, s3
	v_add_co_u32 v40, s2, s0, v1
	s_delay_alu instid0(VALU_DEP_1) | instskip(NEXT) | instid1(VALU_DEP_2)
	v_add_co_ci_u32_e64 v41, null, s1, 0, s2
	v_add_co_u32 v34, vcc_lo, 0x1000, v40
	s_delay_alu instid0(VALU_DEP_2)
	v_add_co_ci_u32_e32 v35, vcc_lo, 0, v41, vcc_lo
	v_add_co_u32 v36, vcc_lo, v40, 0x2000
	v_add_co_ci_u32_e32 v37, vcc_lo, 0, v41, vcc_lo
	v_add_co_u32 v38, vcc_lo, 0x2000, v40
	;; [unrolled: 2-line block ×3, first 2 shown]
	s_waitcnt vmcnt(31)
	global_store_b32 v1, v33, s[0:1]
	s_waitcnt vmcnt(30)
	global_store_b32 v1, v32, s[0:1] offset:1024
	s_waitcnt vmcnt(29)
	global_store_b32 v1, v31, s[0:1] offset:2048
	;; [unrolled: 2-line block ×3, first 2 shown]
	s_waitcnt vmcnt(27)
	global_store_b32 v[34:35], v28, off offset:1024
	s_waitcnt vmcnt(26)
	global_store_b32 v[34:35], v27, off offset:2048
	;; [unrolled: 2-line block ×4, first 2 shown]
	v_add_co_ci_u32_e32 v1, vcc_lo, 0, v41, vcc_lo
	v_add_co_u32 v26, vcc_lo, v40, 0x4000
	v_add_co_ci_u32_e32 v27, vcc_lo, 0, v41, vcc_lo
	v_add_co_u32 v30, vcc_lo, 0x4000, v40
	v_add_co_ci_u32_e32 v31, vcc_lo, 0, v41, vcc_lo
	s_waitcnt vmcnt(23)
	global_store_b32 v[38:39], v23, off offset:2048
	s_waitcnt vmcnt(22)
	global_store_b32 v[38:39], v22, off offset:3072
	;; [unrolled: 2-line block ×8, first 2 shown]
	v_add_co_u32 v0, vcc_lo, 0x5000, v40
	v_add_co_ci_u32_e32 v1, vcc_lo, 0, v41, vcc_lo
	v_add_co_u32 v14, vcc_lo, v40, 0x6000
	v_add_co_ci_u32_e32 v15, vcc_lo, 0, v41, vcc_lo
	;; [unrolled: 2-line block ×3, first 2 shown]
	s_waitcnt vmcnt(15)
	global_store_b32 v[36:37], v25, off
	s_waitcnt vmcnt(14)
	global_store_b32 v[26:27], v21, off offset:-4096
	s_waitcnt vmcnt(13)
	global_store_b32 v[26:27], v17, off
	s_waitcnt vmcnt(12)
	global_store_b32 v[14:15], v13, off offset:-4096
	s_waitcnt vmcnt(11)
	global_store_b32 v[14:15], v9, off
	v_add_co_u32 v13, vcc_lo, 0x7000, v40
	v_add_co_ci_u32_e32 v14, vcc_lo, 0, v41, vcc_lo
	s_waitcnt vmcnt(10)
	global_store_b32 v[0:1], v12, off offset:1024
	s_waitcnt vmcnt(9)
	global_store_b32 v[0:1], v11, off offset:2048
	;; [unrolled: 2-line block ×6, first 2 shown]
	s_waitcnt vmcnt(4)
	global_store_b32 v[13:14], v5, off
	s_waitcnt vmcnt(3)
	global_store_b32 v[13:14], v4, off offset:1024
	s_waitcnt vmcnt(2)
	global_store_b32 v[13:14], v3, off offset:2048
	s_waitcnt vmcnt(1)
	global_store_b32 v[36:37], v29, off offset:-4096
	s_waitcnt vmcnt(0)
	global_store_b32 v[13:14], v2, off offset:3072
	s_nop 0
	s_sendmsg sendmsg(MSG_DEALLOC_VGPRS)
	s_endpgm
	.section	.rodata,"a",@progbits
	.p2align	6, 0x0
	.amdhsa_kernel _Z6kernelI14subtract_rightLj256ELj32ELb1EJPfS1_jEEvDpT3_
		.amdhsa_group_segment_fixed_size 2048
		.amdhsa_private_segment_fixed_size 0
		.amdhsa_kernarg_size 20
		.amdhsa_user_sgpr_count 15
		.amdhsa_user_sgpr_dispatch_ptr 0
		.amdhsa_user_sgpr_queue_ptr 0
		.amdhsa_user_sgpr_kernarg_segment_ptr 1
		.amdhsa_user_sgpr_dispatch_id 0
		.amdhsa_user_sgpr_private_segment_size 0
		.amdhsa_wavefront_size32 1
		.amdhsa_uses_dynamic_stack 0
		.amdhsa_enable_private_segment 0
		.amdhsa_system_sgpr_workgroup_id_x 1
		.amdhsa_system_sgpr_workgroup_id_y 0
		.amdhsa_system_sgpr_workgroup_id_z 0
		.amdhsa_system_sgpr_workgroup_info 0
		.amdhsa_system_vgpr_workitem_id 0
		.amdhsa_next_free_vgpr 66
		.amdhsa_next_free_sgpr 16
		.amdhsa_reserve_vcc 1
		.amdhsa_float_round_mode_32 0
		.amdhsa_float_round_mode_16_64 0
		.amdhsa_float_denorm_mode_32 3
		.amdhsa_float_denorm_mode_16_64 3
		.amdhsa_dx10_clamp 1
		.amdhsa_ieee_mode 1
		.amdhsa_fp16_overflow 0
		.amdhsa_workgroup_processor_mode 1
		.amdhsa_memory_ordered 1
		.amdhsa_forward_progress 0
		.amdhsa_shared_vgpr_count 0
		.amdhsa_exception_fp_ieee_invalid_op 0
		.amdhsa_exception_fp_denorm_src 0
		.amdhsa_exception_fp_ieee_div_zero 0
		.amdhsa_exception_fp_ieee_overflow 0
		.amdhsa_exception_fp_ieee_underflow 0
		.amdhsa_exception_fp_ieee_inexact 0
		.amdhsa_exception_int_div_zero 0
	.end_amdhsa_kernel
	.section	.text._Z6kernelI14subtract_rightLj256ELj32ELb1EJPfS1_jEEvDpT3_,"axG",@progbits,_Z6kernelI14subtract_rightLj256ELj32ELb1EJPfS1_jEEvDpT3_,comdat
.Lfunc_end101:
	.size	_Z6kernelI14subtract_rightLj256ELj32ELb1EJPfS1_jEEvDpT3_, .Lfunc_end101-_Z6kernelI14subtract_rightLj256ELj32ELb1EJPfS1_jEEvDpT3_
                                        ; -- End function
	.section	.AMDGPU.csdata,"",@progbits
; Kernel info:
; codeLenInByte = 1464
; NumSgprs: 18
; NumVgprs: 66
; ScratchSize: 0
; MemoryBound: 0
; FloatMode: 240
; IeeeMode: 1
; LDSByteSize: 2048 bytes/workgroup (compile time only)
; SGPRBlocks: 2
; VGPRBlocks: 8
; NumSGPRsForWavesPerEU: 18
; NumVGPRsForWavesPerEU: 66
; Occupancy: 16
; WaveLimiterHint : 1
; COMPUTE_PGM_RSRC2:SCRATCH_EN: 0
; COMPUTE_PGM_RSRC2:USER_SGPR: 15
; COMPUTE_PGM_RSRC2:TRAP_HANDLER: 0
; COMPUTE_PGM_RSRC2:TGID_X_EN: 1
; COMPUTE_PGM_RSRC2:TGID_Y_EN: 0
; COMPUTE_PGM_RSRC2:TGID_Z_EN: 0
; COMPUTE_PGM_RSRC2:TIDIG_COMP_CNT: 0
	.section	.text._Z6kernelI14subtract_rightLj256ELj1ELb1EJPaS1_jEEvDpT3_,"axG",@progbits,_Z6kernelI14subtract_rightLj256ELj1ELb1EJPaS1_jEEvDpT3_,comdat
	.protected	_Z6kernelI14subtract_rightLj256ELj1ELb1EJPaS1_jEEvDpT3_ ; -- Begin function _Z6kernelI14subtract_rightLj256ELj1ELb1EJPaS1_jEEvDpT3_
	.globl	_Z6kernelI14subtract_rightLj256ELj1ELb1EJPaS1_jEEvDpT3_
	.p2align	8
	.type	_Z6kernelI14subtract_rightLj256ELj1ELb1EJPaS1_jEEvDpT3_,@function
_Z6kernelI14subtract_rightLj256ELj1ELb1EJPaS1_jEEvDpT3_: ; @_Z6kernelI14subtract_rightLj256ELj1ELb1EJPaS1_jEEvDpT3_
; %bb.0:
	s_load_b128 s[4:7], s[0:1], 0x0
	s_lshl_b32 s2, s15, 8
	s_load_b32 s0, s[0:1], 0x10
	s_waitcnt lgkmcnt(0)
	s_add_u32 s4, s4, s2
	s_addc_u32 s5, s5, 0
	s_cmp_eq_u32 s0, 0
	global_load_u8 v1, v0, s[4:5]
	s_cbranch_scc1 .LBB102_5
; %bb.1:
	v_cmp_ne_u32_e32 vcc_lo, 0xff, v0
	s_branch .LBB102_3
	.p2align	6
.LBB102_2:                              ;   in Loop: Header=BB102_3 Depth=1
	s_or_b32 exec_lo, exec_lo, s1
	v_lshlrev_b16 v1, 1, v1
	s_add_i32 s0, s0, -1
	s_waitcnt lgkmcnt(0)
	s_cmp_lg_u32 s0, 0
	s_barrier
	v_sub_nc_u16 v1, v1, v2
	buffer_gl0_inv
	s_cbranch_scc0 .LBB102_5
.LBB102_3:                              ; =>This Inner Loop Header: Depth=1
	v_mov_b32_e32 v2, 0x7b
	s_waitcnt vmcnt(0)
	ds_store_b8 v0, v1 offset:256
	s_waitcnt lgkmcnt(0)
	s_barrier
	buffer_gl0_inv
	s_and_saveexec_b32 s1, vcc_lo
	s_cbranch_execz .LBB102_2
; %bb.4:                                ;   in Loop: Header=BB102_3 Depth=1
	ds_load_u8 v2, v0 offset:257
	s_branch .LBB102_2
.LBB102_5:
	s_add_u32 s0, s6, s2
	s_addc_u32 s1, s7, 0
	v_add_co_u32 v2, s0, s0, v0
	s_delay_alu instid0(VALU_DEP_1)
	v_add_co_ci_u32_e64 v3, null, s1, 0, s0
	s_waitcnt vmcnt(0)
	global_store_b8 v[2:3], v1, off
	s_nop 0
	s_sendmsg sendmsg(MSG_DEALLOC_VGPRS)
	s_endpgm
	.section	.rodata,"a",@progbits
	.p2align	6, 0x0
	.amdhsa_kernel _Z6kernelI14subtract_rightLj256ELj1ELb1EJPaS1_jEEvDpT3_
		.amdhsa_group_segment_fixed_size 512
		.amdhsa_private_segment_fixed_size 0
		.amdhsa_kernarg_size 20
		.amdhsa_user_sgpr_count 15
		.amdhsa_user_sgpr_dispatch_ptr 0
		.amdhsa_user_sgpr_queue_ptr 0
		.amdhsa_user_sgpr_kernarg_segment_ptr 1
		.amdhsa_user_sgpr_dispatch_id 0
		.amdhsa_user_sgpr_private_segment_size 0
		.amdhsa_wavefront_size32 1
		.amdhsa_uses_dynamic_stack 0
		.amdhsa_enable_private_segment 0
		.amdhsa_system_sgpr_workgroup_id_x 1
		.amdhsa_system_sgpr_workgroup_id_y 0
		.amdhsa_system_sgpr_workgroup_id_z 0
		.amdhsa_system_sgpr_workgroup_info 0
		.amdhsa_system_vgpr_workitem_id 0
		.amdhsa_next_free_vgpr 4
		.amdhsa_next_free_sgpr 16
		.amdhsa_reserve_vcc 1
		.amdhsa_float_round_mode_32 0
		.amdhsa_float_round_mode_16_64 0
		.amdhsa_float_denorm_mode_32 3
		.amdhsa_float_denorm_mode_16_64 3
		.amdhsa_dx10_clamp 1
		.amdhsa_ieee_mode 1
		.amdhsa_fp16_overflow 0
		.amdhsa_workgroup_processor_mode 1
		.amdhsa_memory_ordered 1
		.amdhsa_forward_progress 0
		.amdhsa_shared_vgpr_count 0
		.amdhsa_exception_fp_ieee_invalid_op 0
		.amdhsa_exception_fp_denorm_src 0
		.amdhsa_exception_fp_ieee_div_zero 0
		.amdhsa_exception_fp_ieee_overflow 0
		.amdhsa_exception_fp_ieee_underflow 0
		.amdhsa_exception_fp_ieee_inexact 0
		.amdhsa_exception_int_div_zero 0
	.end_amdhsa_kernel
	.section	.text._Z6kernelI14subtract_rightLj256ELj1ELb1EJPaS1_jEEvDpT3_,"axG",@progbits,_Z6kernelI14subtract_rightLj256ELj1ELb1EJPaS1_jEEvDpT3_,comdat
.Lfunc_end102:
	.size	_Z6kernelI14subtract_rightLj256ELj1ELb1EJPaS1_jEEvDpT3_, .Lfunc_end102-_Z6kernelI14subtract_rightLj256ELj1ELb1EJPaS1_jEEvDpT3_
                                        ; -- End function
	.section	.AMDGPU.csdata,"",@progbits
; Kernel info:
; codeLenInByte = 216
; NumSgprs: 18
; NumVgprs: 4
; ScratchSize: 0
; MemoryBound: 0
; FloatMode: 240
; IeeeMode: 1
; LDSByteSize: 512 bytes/workgroup (compile time only)
; SGPRBlocks: 2
; VGPRBlocks: 0
; NumSGPRsForWavesPerEU: 18
; NumVGPRsForWavesPerEU: 4
; Occupancy: 16
; WaveLimiterHint : 0
; COMPUTE_PGM_RSRC2:SCRATCH_EN: 0
; COMPUTE_PGM_RSRC2:USER_SGPR: 15
; COMPUTE_PGM_RSRC2:TRAP_HANDLER: 0
; COMPUTE_PGM_RSRC2:TGID_X_EN: 1
; COMPUTE_PGM_RSRC2:TGID_Y_EN: 0
; COMPUTE_PGM_RSRC2:TGID_Z_EN: 0
; COMPUTE_PGM_RSRC2:TIDIG_COMP_CNT: 0
	.section	.text._Z6kernelI14subtract_rightLj256ELj3ELb1EJPaS1_jEEvDpT3_,"axG",@progbits,_Z6kernelI14subtract_rightLj256ELj3ELb1EJPaS1_jEEvDpT3_,comdat
	.protected	_Z6kernelI14subtract_rightLj256ELj3ELb1EJPaS1_jEEvDpT3_ ; -- Begin function _Z6kernelI14subtract_rightLj256ELj3ELb1EJPaS1_jEEvDpT3_
	.globl	_Z6kernelI14subtract_rightLj256ELj3ELb1EJPaS1_jEEvDpT3_
	.p2align	8
	.type	_Z6kernelI14subtract_rightLj256ELj3ELb1EJPaS1_jEEvDpT3_,@function
_Z6kernelI14subtract_rightLj256ELj3ELb1EJPaS1_jEEvDpT3_: ; @_Z6kernelI14subtract_rightLj256ELj3ELb1EJPaS1_jEEvDpT3_
; %bb.0:
	s_load_b128 s[4:7], s[0:1], 0x0
	s_mul_i32 s2, s15, 0x300
	s_load_b32 s0, s[0:1], 0x10
	s_waitcnt lgkmcnt(0)
	s_add_u32 s4, s4, s2
	s_addc_u32 s5, s5, 0
	s_cmp_eq_u32 s0, 0
	s_clause 0x2
	global_load_u8 v1, v0, s[4:5] offset:256
	global_load_u8 v2, v0, s[4:5]
	global_load_u8 v3, v0, s[4:5] offset:512
	s_waitcnt vmcnt(2)
	v_lshlrev_b16 v1, 8, v1
	s_waitcnt vmcnt(1)
	s_delay_alu instid0(VALU_DEP_1) | instskip(NEXT) | instid1(VALU_DEP_1)
	v_or_b32_e32 v1, v2, v1
	v_and_b32_e32 v1, 0xffff, v1
	s_waitcnt vmcnt(0)
	s_delay_alu instid0(VALU_DEP_1)
	v_lshl_or_b32 v1, v3, 16, v1
	s_cbranch_scc1 .LBB103_5
; %bb.1:
	v_cmp_ne_u32_e32 vcc_lo, 0xff, v0
	s_set_inst_prefetch_distance 0x1
	s_branch .LBB103_3
	.p2align	6
.LBB103_2:                              ;   in Loop: Header=BB103_3 Depth=1
	s_or_b32 exec_lo, exec_lo, s1
	v_lshrrev_b32_e32 v3, 8, v1
	v_lshrrev_b32_e32 v4, 16, v1
	v_lshlrev_b16 v1, 1, v1
	s_add_i32 s0, s0, -1
	s_waitcnt lgkmcnt(0)
	v_lshlrev_b16 v5, 1, v3
	v_lshlrev_b16 v6, 1, v4
	v_sub_nc_u16 v1, v1, v3
	s_cmp_lg_u32 s0, 0
	s_barrier
	v_sub_nc_u16 v3, v5, v4
	v_sub_nc_u16 v2, v6, v2
	v_and_b32_e32 v1, 0xff, v1
	buffer_gl0_inv
	v_lshlrev_b16 v3, 8, v3
	v_and_b32_e32 v2, 0xff, v2
	s_delay_alu instid0(VALU_DEP_2) | instskip(NEXT) | instid1(VALU_DEP_2)
	v_or_b32_e32 v1, v1, v3
	v_lshlrev_b32_e32 v2, 16, v2
	s_delay_alu instid0(VALU_DEP_2) | instskip(NEXT) | instid1(VALU_DEP_1)
	v_and_b32_e32 v1, 0xffff, v1
	v_or_b32_e32 v1, v1, v2
	s_cbranch_scc0 .LBB103_5
.LBB103_3:                              ; =>This Inner Loop Header: Depth=1
	v_mov_b32_e32 v2, 0x7b
	ds_store_b8 v0, v1 offset:256
	s_waitcnt lgkmcnt(0)
	s_barrier
	buffer_gl0_inv
	s_and_saveexec_b32 s1, vcc_lo
	s_cbranch_execz .LBB103_2
; %bb.4:                                ;   in Loop: Header=BB103_3 Depth=1
	ds_load_u8 v2, v0 offset:257
	s_branch .LBB103_2
.LBB103_5:
	s_set_inst_prefetch_distance 0x2
	s_add_u32 s0, s6, s2
	s_addc_u32 s1, s7, 0
	v_add_co_u32 v2, s0, s0, v0
	s_delay_alu instid0(VALU_DEP_1)
	v_add_co_ci_u32_e64 v3, null, s1, 0, s0
	v_lshrrev_b32_e32 v0, 8, v1
	s_clause 0x2
	global_store_b8 v[2:3], v1, off
	global_store_b8 v[2:3], v0, off offset:256
	global_store_d16_hi_b8 v[2:3], v1, off offset:512
	s_nop 0
	s_sendmsg sendmsg(MSG_DEALLOC_VGPRS)
	s_endpgm
	.section	.rodata,"a",@progbits
	.p2align	6, 0x0
	.amdhsa_kernel _Z6kernelI14subtract_rightLj256ELj3ELb1EJPaS1_jEEvDpT3_
		.amdhsa_group_segment_fixed_size 512
		.amdhsa_private_segment_fixed_size 0
		.amdhsa_kernarg_size 20
		.amdhsa_user_sgpr_count 15
		.amdhsa_user_sgpr_dispatch_ptr 0
		.amdhsa_user_sgpr_queue_ptr 0
		.amdhsa_user_sgpr_kernarg_segment_ptr 1
		.amdhsa_user_sgpr_dispatch_id 0
		.amdhsa_user_sgpr_private_segment_size 0
		.amdhsa_wavefront_size32 1
		.amdhsa_uses_dynamic_stack 0
		.amdhsa_enable_private_segment 0
		.amdhsa_system_sgpr_workgroup_id_x 1
		.amdhsa_system_sgpr_workgroup_id_y 0
		.amdhsa_system_sgpr_workgroup_id_z 0
		.amdhsa_system_sgpr_workgroup_info 0
		.amdhsa_system_vgpr_workitem_id 0
		.amdhsa_next_free_vgpr 7
		.amdhsa_next_free_sgpr 16
		.amdhsa_reserve_vcc 1
		.amdhsa_float_round_mode_32 0
		.amdhsa_float_round_mode_16_64 0
		.amdhsa_float_denorm_mode_32 3
		.amdhsa_float_denorm_mode_16_64 3
		.amdhsa_dx10_clamp 1
		.amdhsa_ieee_mode 1
		.amdhsa_fp16_overflow 0
		.amdhsa_workgroup_processor_mode 1
		.amdhsa_memory_ordered 1
		.amdhsa_forward_progress 0
		.amdhsa_shared_vgpr_count 0
		.amdhsa_exception_fp_ieee_invalid_op 0
		.amdhsa_exception_fp_denorm_src 0
		.amdhsa_exception_fp_ieee_div_zero 0
		.amdhsa_exception_fp_ieee_overflow 0
		.amdhsa_exception_fp_ieee_underflow 0
		.amdhsa_exception_fp_ieee_inexact 0
		.amdhsa_exception_int_div_zero 0
	.end_amdhsa_kernel
	.section	.text._Z6kernelI14subtract_rightLj256ELj3ELb1EJPaS1_jEEvDpT3_,"axG",@progbits,_Z6kernelI14subtract_rightLj256ELj3ELb1EJPaS1_jEEvDpT3_,comdat
.Lfunc_end103:
	.size	_Z6kernelI14subtract_rightLj256ELj3ELb1EJPaS1_jEEvDpT3_, .Lfunc_end103-_Z6kernelI14subtract_rightLj256ELj3ELb1EJPaS1_jEEvDpT3_
                                        ; -- End function
	.section	.AMDGPU.csdata,"",@progbits
; Kernel info:
; codeLenInByte = 404
; NumSgprs: 18
; NumVgprs: 7
; ScratchSize: 0
; MemoryBound: 0
; FloatMode: 240
; IeeeMode: 1
; LDSByteSize: 512 bytes/workgroup (compile time only)
; SGPRBlocks: 2
; VGPRBlocks: 0
; NumSGPRsForWavesPerEU: 18
; NumVGPRsForWavesPerEU: 7
; Occupancy: 16
; WaveLimiterHint : 1
; COMPUTE_PGM_RSRC2:SCRATCH_EN: 0
; COMPUTE_PGM_RSRC2:USER_SGPR: 15
; COMPUTE_PGM_RSRC2:TRAP_HANDLER: 0
; COMPUTE_PGM_RSRC2:TGID_X_EN: 1
; COMPUTE_PGM_RSRC2:TGID_Y_EN: 0
; COMPUTE_PGM_RSRC2:TGID_Z_EN: 0
; COMPUTE_PGM_RSRC2:TIDIG_COMP_CNT: 0
	.section	.text._Z6kernelI14subtract_rightLj256ELj4ELb1EJPaS1_jEEvDpT3_,"axG",@progbits,_Z6kernelI14subtract_rightLj256ELj4ELb1EJPaS1_jEEvDpT3_,comdat
	.protected	_Z6kernelI14subtract_rightLj256ELj4ELb1EJPaS1_jEEvDpT3_ ; -- Begin function _Z6kernelI14subtract_rightLj256ELj4ELb1EJPaS1_jEEvDpT3_
	.globl	_Z6kernelI14subtract_rightLj256ELj4ELb1EJPaS1_jEEvDpT3_
	.p2align	8
	.type	_Z6kernelI14subtract_rightLj256ELj4ELb1EJPaS1_jEEvDpT3_,@function
_Z6kernelI14subtract_rightLj256ELj4ELb1EJPaS1_jEEvDpT3_: ; @_Z6kernelI14subtract_rightLj256ELj4ELb1EJPaS1_jEEvDpT3_
; %bb.0:
	s_load_b128 s[4:7], s[0:1], 0x0
	s_lshl_b32 s2, s15, 10
	s_load_b32 s0, s[0:1], 0x10
	s_waitcnt lgkmcnt(0)
	s_add_u32 s4, s4, s2
	s_addc_u32 s5, s5, 0
	s_cmp_eq_u32 s0, 0
	s_clause 0x3
	global_load_u8 v1, v0, s[4:5] offset:256
	global_load_u8 v2, v0, s[4:5] offset:768
	global_load_u8 v3, v0, s[4:5]
	global_load_u8 v4, v0, s[4:5] offset:512
	s_waitcnt vmcnt(3)
	v_lshlrev_b16 v1, 8, v1
	s_waitcnt vmcnt(2)
	v_lshlrev_b16 v2, 8, v2
	s_waitcnt vmcnt(1)
	s_delay_alu instid0(VALU_DEP_2) | instskip(SKIP_1) | instid1(VALU_DEP_2)
	v_or_b32_e32 v1, v3, v1
	s_waitcnt vmcnt(0)
	v_or_b32_e32 v2, v4, v2
	s_delay_alu instid0(VALU_DEP_2) | instskip(NEXT) | instid1(VALU_DEP_2)
	v_and_b32_e32 v1, 0xffff, v1
	v_lshlrev_b32_e32 v2, 16, v2
	s_delay_alu instid0(VALU_DEP_1)
	v_or_b32_e32 v1, v1, v2
	s_cbranch_scc1 .LBB104_5
; %bb.1:
	v_cmp_ne_u32_e32 vcc_lo, 0xff, v0
	s_set_inst_prefetch_distance 0x1
	s_branch .LBB104_3
	.p2align	6
.LBB104_2:                              ;   in Loop: Header=BB104_3 Depth=1
	s_or_b32 exec_lo, exec_lo, s1
	v_lshrrev_b32_e32 v3, 8, v1
	v_lshrrev_b32_e32 v4, 16, v1
	;; [unrolled: 1-line block ×3, first 2 shown]
	v_lshlrev_b16 v1, 1, v1
	s_add_i32 s0, s0, -1
	v_lshlrev_b16 v6, 1, v3
	v_lshlrev_b16 v7, 1, v4
	;; [unrolled: 1-line block ×3, first 2 shown]
	v_sub_nc_u16 v1, v1, v3
	s_cmp_lg_u32 s0, 0
	v_sub_nc_u16 v3, v6, v4
	v_sub_nc_u16 v4, v7, v5
	s_waitcnt lgkmcnt(0)
	v_sub_nc_u16 v2, v8, v2
	v_and_b32_e32 v1, 0xff, v1
	v_lshlrev_b16 v3, 8, v3
	v_and_b32_e32 v4, 0xff, v4
	s_delay_alu instid0(VALU_DEP_4) | instskip(SKIP_4) | instid1(VALU_DEP_2)
	v_lshlrev_b16 v2, 8, v2
	s_barrier
	buffer_gl0_inv
	v_or_b32_e32 v1, v1, v3
	v_or_b32_e32 v2, v4, v2
	v_and_b32_e32 v1, 0xffff, v1
	s_delay_alu instid0(VALU_DEP_2) | instskip(NEXT) | instid1(VALU_DEP_1)
	v_lshlrev_b32_e32 v2, 16, v2
	v_or_b32_e32 v1, v1, v2
	s_cbranch_scc0 .LBB104_5
.LBB104_3:                              ; =>This Inner Loop Header: Depth=1
	v_mov_b32_e32 v2, 0x7b
	ds_store_b8 v0, v1 offset:256
	s_waitcnt lgkmcnt(0)
	s_barrier
	buffer_gl0_inv
	s_and_saveexec_b32 s1, vcc_lo
	s_cbranch_execz .LBB104_2
; %bb.4:                                ;   in Loop: Header=BB104_3 Depth=1
	ds_load_u8 v2, v0 offset:257
	s_branch .LBB104_2
.LBB104_5:
	s_set_inst_prefetch_distance 0x2
	s_add_u32 s0, s6, s2
	s_addc_u32 s1, s7, 0
	v_add_co_u32 v2, s0, s0, v0
	s_delay_alu instid0(VALU_DEP_1)
	v_add_co_ci_u32_e64 v3, null, s1, 0, s0
	v_lshrrev_b32_e32 v0, 8, v1
	v_lshrrev_b32_e32 v4, 24, v1
	s_clause 0x3
	global_store_b8 v[2:3], v1, off
	global_store_b8 v[2:3], v0, off offset:256
	global_store_d16_hi_b8 v[2:3], v1, off offset:512
	global_store_b8 v[2:3], v4, off offset:768
	s_nop 0
	s_sendmsg sendmsg(MSG_DEALLOC_VGPRS)
	s_endpgm
	.section	.rodata,"a",@progbits
	.p2align	6, 0x0
	.amdhsa_kernel _Z6kernelI14subtract_rightLj256ELj4ELb1EJPaS1_jEEvDpT3_
		.amdhsa_group_segment_fixed_size 512
		.amdhsa_private_segment_fixed_size 0
		.amdhsa_kernarg_size 20
		.amdhsa_user_sgpr_count 15
		.amdhsa_user_sgpr_dispatch_ptr 0
		.amdhsa_user_sgpr_queue_ptr 0
		.amdhsa_user_sgpr_kernarg_segment_ptr 1
		.amdhsa_user_sgpr_dispatch_id 0
		.amdhsa_user_sgpr_private_segment_size 0
		.amdhsa_wavefront_size32 1
		.amdhsa_uses_dynamic_stack 0
		.amdhsa_enable_private_segment 0
		.amdhsa_system_sgpr_workgroup_id_x 1
		.amdhsa_system_sgpr_workgroup_id_y 0
		.amdhsa_system_sgpr_workgroup_id_z 0
		.amdhsa_system_sgpr_workgroup_info 0
		.amdhsa_system_vgpr_workitem_id 0
		.amdhsa_next_free_vgpr 9
		.amdhsa_next_free_sgpr 16
		.amdhsa_reserve_vcc 1
		.amdhsa_float_round_mode_32 0
		.amdhsa_float_round_mode_16_64 0
		.amdhsa_float_denorm_mode_32 3
		.amdhsa_float_denorm_mode_16_64 3
		.amdhsa_dx10_clamp 1
		.amdhsa_ieee_mode 1
		.amdhsa_fp16_overflow 0
		.amdhsa_workgroup_processor_mode 1
		.amdhsa_memory_ordered 1
		.amdhsa_forward_progress 0
		.amdhsa_shared_vgpr_count 0
		.amdhsa_exception_fp_ieee_invalid_op 0
		.amdhsa_exception_fp_denorm_src 0
		.amdhsa_exception_fp_ieee_div_zero 0
		.amdhsa_exception_fp_ieee_overflow 0
		.amdhsa_exception_fp_ieee_underflow 0
		.amdhsa_exception_fp_ieee_inexact 0
		.amdhsa_exception_int_div_zero 0
	.end_amdhsa_kernel
	.section	.text._Z6kernelI14subtract_rightLj256ELj4ELb1EJPaS1_jEEvDpT3_,"axG",@progbits,_Z6kernelI14subtract_rightLj256ELj4ELb1EJPaS1_jEEvDpT3_,comdat
.Lfunc_end104:
	.size	_Z6kernelI14subtract_rightLj256ELj4ELb1EJPaS1_jEEvDpT3_, .Lfunc_end104-_Z6kernelI14subtract_rightLj256ELj4ELb1EJPaS1_jEEvDpT3_
                                        ; -- End function
	.section	.AMDGPU.csdata,"",@progbits
; Kernel info:
; codeLenInByte = 472
; NumSgprs: 18
; NumVgprs: 9
; ScratchSize: 0
; MemoryBound: 0
; FloatMode: 240
; IeeeMode: 1
; LDSByteSize: 512 bytes/workgroup (compile time only)
; SGPRBlocks: 2
; VGPRBlocks: 1
; NumSGPRsForWavesPerEU: 18
; NumVGPRsForWavesPerEU: 9
; Occupancy: 16
; WaveLimiterHint : 1
; COMPUTE_PGM_RSRC2:SCRATCH_EN: 0
; COMPUTE_PGM_RSRC2:USER_SGPR: 15
; COMPUTE_PGM_RSRC2:TRAP_HANDLER: 0
; COMPUTE_PGM_RSRC2:TGID_X_EN: 1
; COMPUTE_PGM_RSRC2:TGID_Y_EN: 0
; COMPUTE_PGM_RSRC2:TGID_Z_EN: 0
; COMPUTE_PGM_RSRC2:TIDIG_COMP_CNT: 0
	.section	.text._Z6kernelI14subtract_rightLj256ELj8ELb1EJPaS1_jEEvDpT3_,"axG",@progbits,_Z6kernelI14subtract_rightLj256ELj8ELb1EJPaS1_jEEvDpT3_,comdat
	.protected	_Z6kernelI14subtract_rightLj256ELj8ELb1EJPaS1_jEEvDpT3_ ; -- Begin function _Z6kernelI14subtract_rightLj256ELj8ELb1EJPaS1_jEEvDpT3_
	.globl	_Z6kernelI14subtract_rightLj256ELj8ELb1EJPaS1_jEEvDpT3_
	.p2align	8
	.type	_Z6kernelI14subtract_rightLj256ELj8ELb1EJPaS1_jEEvDpT3_,@function
_Z6kernelI14subtract_rightLj256ELj8ELb1EJPaS1_jEEvDpT3_: ; @_Z6kernelI14subtract_rightLj256ELj8ELb1EJPaS1_jEEvDpT3_
; %bb.0:
	s_load_b128 s[4:7], s[0:1], 0x0
	s_lshl_b32 s2, s15, 11
	s_load_b32 s0, s[0:1], 0x10
	s_waitcnt lgkmcnt(0)
	s_add_u32 s4, s4, s2
	s_addc_u32 s5, s5, 0
	s_cmp_eq_u32 s0, 0
	s_clause 0x7
	global_load_u8 v1, v0, s[4:5] offset:256
	global_load_u8 v2, v0, s[4:5] offset:768
	;; [unrolled: 1-line block ×4, first 2 shown]
	global_load_u8 v5, v0, s[4:5]
	global_load_u8 v6, v0, s[4:5] offset:512
	global_load_u8 v7, v0, s[4:5] offset:1024
	;; [unrolled: 1-line block ×3, first 2 shown]
	s_waitcnt vmcnt(7)
	v_lshlrev_b16 v1, 8, v1
	s_waitcnt vmcnt(6)
	v_lshlrev_b16 v2, 8, v2
	s_waitcnt vmcnt(5)
	v_lshlrev_b16 v3, 8, v3
	s_waitcnt vmcnt(4)
	v_lshlrev_b16 v4, 8, v4
	s_waitcnt vmcnt(3)
	v_or_b32_e32 v1, v5, v1
	s_waitcnt vmcnt(2)
	v_or_b32_e32 v2, v6, v2
	;; [unrolled: 2-line block ×4, first 2 shown]
	v_and_b32_e32 v1, 0xffff, v1
	v_lshlrev_b32_e32 v2, 16, v2
	v_and_b32_e32 v3, 0xffff, v3
	s_delay_alu instid0(VALU_DEP_4) | instskip(NEXT) | instid1(VALU_DEP_3)
	v_lshlrev_b32_e32 v4, 16, v4
	v_or_b32_e32 v1, v1, v2
	s_delay_alu instid0(VALU_DEP_2)
	v_or_b32_e32 v2, v3, v4
	s_cbranch_scc1 .LBB105_5
; %bb.1:
	v_cmp_ne_u32_e32 vcc_lo, 0xff, v0
	s_branch .LBB105_3
.LBB105_2:                              ;   in Loop: Header=BB105_3 Depth=1
	s_or_b32 exec_lo, exec_lo, s1
	v_lshrrev_b32_e32 v6, 8, v1
	v_lshrrev_b32_e32 v7, 16, v1
	v_lshrrev_b64 v[4:5], 24, v[1:2]
	v_lshrrev_b32_e32 v5, 8, v2
	v_lshlrev_b16 v1, 1, v1
	v_lshlrev_b16 v8, 1, v6
	;; [unrolled: 1-line block ×3, first 2 shown]
	v_lshrrev_b32_e32 v10, 16, v2
	v_lshrrev_b32_e32 v11, 24, v2
	v_sub_nc_u16 v1, v1, v6
	v_sub_nc_u16 v6, v8, v7
	;; [unrolled: 1-line block ×3, first 2 shown]
	v_lshlrev_b16 v4, 1, v4
	v_lshlrev_b16 v8, 1, v2
	;; [unrolled: 1-line block ×5, first 2 shown]
	v_sub_nc_u16 v2, v4, v2
	v_sub_nc_u16 v4, v8, v5
	;; [unrolled: 1-line block ×4, first 2 shown]
	s_waitcnt lgkmcnt(0)
	v_sub_nc_u16 v3, v13, v3
	v_and_b32_e32 v1, 0xff, v1
	v_lshlrev_b16 v6, 8, v6
	v_and_b32_e32 v7, 0xff, v7
	v_lshlrev_b16 v2, 8, v2
	;; [unrolled: 2-line block ×4, first 2 shown]
	v_or_b32_e32 v1, v1, v6
	v_or_b32_e32 v2, v7, v2
	;; [unrolled: 1-line block ×3, first 2 shown]
	s_add_i32 s0, s0, -1
	v_or_b32_e32 v3, v8, v3
	v_and_b32_e32 v1, 0xffff, v1
	v_lshlrev_b32_e32 v2, 16, v2
	v_and_b32_e32 v4, 0xffff, v4
	s_cmp_lg_u32 s0, 0
	v_lshlrev_b32_e32 v3, 16, v3
	s_delay_alu instid0(VALU_DEP_3)
	v_or_b32_e32 v1, v1, v2
	s_barrier
	buffer_gl0_inv
	v_or_b32_e32 v2, v4, v3
	s_cbranch_scc0 .LBB105_5
.LBB105_3:                              ; =>This Inner Loop Header: Depth=1
	v_mov_b32_e32 v3, 0x7b
	ds_store_b8 v0, v1 offset:256
	s_waitcnt lgkmcnt(0)
	s_barrier
	buffer_gl0_inv
	s_and_saveexec_b32 s1, vcc_lo
	s_cbranch_execz .LBB105_2
; %bb.4:                                ;   in Loop: Header=BB105_3 Depth=1
	ds_load_u8 v3, v0 offset:257
	s_branch .LBB105_2
.LBB105_5:
	s_add_u32 s0, s6, s2
	s_addc_u32 s1, s7, 0
	v_add_co_u32 v3, s0, s0, v0
	s_delay_alu instid0(VALU_DEP_1)
	v_add_co_ci_u32_e64 v4, null, s1, 0, s0
	v_lshrrev_b32_e32 v0, 8, v1
	v_lshrrev_b32_e32 v5, 24, v1
	;; [unrolled: 1-line block ×4, first 2 shown]
	s_clause 0x7
	global_store_b8 v[3:4], v1, off
	global_store_b8 v[3:4], v0, off offset:256
	global_store_d16_hi_b8 v[3:4], v1, off offset:512
	global_store_b8 v[3:4], v5, off offset:768
	global_store_b8 v[3:4], v2, off offset:1024
	;; [unrolled: 1-line block ×3, first 2 shown]
	global_store_d16_hi_b8 v[3:4], v2, off offset:1536
	global_store_b8 v[3:4], v7, off offset:1792
	s_nop 0
	s_sendmsg sendmsg(MSG_DEALLOC_VGPRS)
	s_endpgm
	.section	.rodata,"a",@progbits
	.p2align	6, 0x0
	.amdhsa_kernel _Z6kernelI14subtract_rightLj256ELj8ELb1EJPaS1_jEEvDpT3_
		.amdhsa_group_segment_fixed_size 512
		.amdhsa_private_segment_fixed_size 0
		.amdhsa_kernarg_size 20
		.amdhsa_user_sgpr_count 15
		.amdhsa_user_sgpr_dispatch_ptr 0
		.amdhsa_user_sgpr_queue_ptr 0
		.amdhsa_user_sgpr_kernarg_segment_ptr 1
		.amdhsa_user_sgpr_dispatch_id 0
		.amdhsa_user_sgpr_private_segment_size 0
		.amdhsa_wavefront_size32 1
		.amdhsa_uses_dynamic_stack 0
		.amdhsa_enable_private_segment 0
		.amdhsa_system_sgpr_workgroup_id_x 1
		.amdhsa_system_sgpr_workgroup_id_y 0
		.amdhsa_system_sgpr_workgroup_id_z 0
		.amdhsa_system_sgpr_workgroup_info 0
		.amdhsa_system_vgpr_workitem_id 0
		.amdhsa_next_free_vgpr 14
		.amdhsa_next_free_sgpr 16
		.amdhsa_reserve_vcc 1
		.amdhsa_float_round_mode_32 0
		.amdhsa_float_round_mode_16_64 0
		.amdhsa_float_denorm_mode_32 3
		.amdhsa_float_denorm_mode_16_64 3
		.amdhsa_dx10_clamp 1
		.amdhsa_ieee_mode 1
		.amdhsa_fp16_overflow 0
		.amdhsa_workgroup_processor_mode 1
		.amdhsa_memory_ordered 1
		.amdhsa_forward_progress 0
		.amdhsa_shared_vgpr_count 0
		.amdhsa_exception_fp_ieee_invalid_op 0
		.amdhsa_exception_fp_denorm_src 0
		.amdhsa_exception_fp_ieee_div_zero 0
		.amdhsa_exception_fp_ieee_overflow 0
		.amdhsa_exception_fp_ieee_underflow 0
		.amdhsa_exception_fp_ieee_inexact 0
		.amdhsa_exception_int_div_zero 0
	.end_amdhsa_kernel
	.section	.text._Z6kernelI14subtract_rightLj256ELj8ELb1EJPaS1_jEEvDpT3_,"axG",@progbits,_Z6kernelI14subtract_rightLj256ELj8ELb1EJPaS1_jEEvDpT3_,comdat
.Lfunc_end105:
	.size	_Z6kernelI14subtract_rightLj256ELj8ELb1EJPaS1_jEEvDpT3_, .Lfunc_end105-_Z6kernelI14subtract_rightLj256ELj8ELb1EJPaS1_jEEvDpT3_
                                        ; -- End function
	.section	.AMDGPU.csdata,"",@progbits
; Kernel info:
; codeLenInByte = 720
; NumSgprs: 18
; NumVgprs: 14
; ScratchSize: 0
; MemoryBound: 0
; FloatMode: 240
; IeeeMode: 1
; LDSByteSize: 512 bytes/workgroup (compile time only)
; SGPRBlocks: 2
; VGPRBlocks: 1
; NumSGPRsForWavesPerEU: 18
; NumVGPRsForWavesPerEU: 14
; Occupancy: 16
; WaveLimiterHint : 1
; COMPUTE_PGM_RSRC2:SCRATCH_EN: 0
; COMPUTE_PGM_RSRC2:USER_SGPR: 15
; COMPUTE_PGM_RSRC2:TRAP_HANDLER: 0
; COMPUTE_PGM_RSRC2:TGID_X_EN: 1
; COMPUTE_PGM_RSRC2:TGID_Y_EN: 0
; COMPUTE_PGM_RSRC2:TGID_Z_EN: 0
; COMPUTE_PGM_RSRC2:TIDIG_COMP_CNT: 0
	.section	.text._Z6kernelI14subtract_rightLj256ELj16ELb1EJPaS1_jEEvDpT3_,"axG",@progbits,_Z6kernelI14subtract_rightLj256ELj16ELb1EJPaS1_jEEvDpT3_,comdat
	.protected	_Z6kernelI14subtract_rightLj256ELj16ELb1EJPaS1_jEEvDpT3_ ; -- Begin function _Z6kernelI14subtract_rightLj256ELj16ELb1EJPaS1_jEEvDpT3_
	.globl	_Z6kernelI14subtract_rightLj256ELj16ELb1EJPaS1_jEEvDpT3_
	.p2align	8
	.type	_Z6kernelI14subtract_rightLj256ELj16ELb1EJPaS1_jEEvDpT3_,@function
_Z6kernelI14subtract_rightLj256ELj16ELb1EJPaS1_jEEvDpT3_: ; @_Z6kernelI14subtract_rightLj256ELj16ELb1EJPaS1_jEEvDpT3_
; %bb.0:
	s_load_b128 s[4:7], s[0:1], 0x0
	s_lshl_b32 s2, s15, 12
	s_load_b32 s0, s[0:1], 0x10
	s_waitcnt lgkmcnt(0)
	s_add_u32 s4, s4, s2
	s_addc_u32 s5, s5, 0
	s_cmp_eq_u32 s0, 0
	s_clause 0xf
	global_load_u8 v1, v0, s[4:5] offset:256
	global_load_u8 v2, v0, s[4:5] offset:768
	;; [unrolled: 1-line block ×8, first 2 shown]
	global_load_u8 v9, v0, s[4:5]
	global_load_u8 v10, v0, s[4:5] offset:512
	global_load_u8 v11, v0, s[4:5] offset:1024
	;; [unrolled: 1-line block ×7, first 2 shown]
	s_waitcnt vmcnt(15)
	v_lshlrev_b16 v1, 8, v1
	s_waitcnt vmcnt(14)
	v_lshlrev_b16 v2, 8, v2
	;; [unrolled: 2-line block ×8, first 2 shown]
	s_waitcnt vmcnt(7)
	v_or_b32_e32 v1, v9, v1
	s_waitcnt vmcnt(6)
	v_or_b32_e32 v2, v10, v2
	;; [unrolled: 2-line block ×8, first 2 shown]
	v_and_b32_e32 v1, 0xffff, v1
	v_lshlrev_b32_e32 v2, 16, v2
	v_and_b32_e32 v9, 0xffff, v3
	v_lshlrev_b32_e32 v4, 16, v4
	;; [unrolled: 2-line block ×4, first 2 shown]
	v_or_b32_e32 v3, v1, v2
	v_or_b32_e32 v4, v9, v4
	;; [unrolled: 1-line block ×3, first 2 shown]
	s_delay_alu instid0(VALU_DEP_4)
	v_or_b32_e32 v2, v7, v8
	s_cbranch_scc1 .LBB106_5
; %bb.1:
	v_cmp_ne_u32_e32 vcc_lo, 0xff, v0
	s_branch .LBB106_3
.LBB106_2:                              ;   in Loop: Header=BB106_3 Depth=1
	s_or_b32 exec_lo, exec_lo, s1
	v_lshrrev_b64 v[6:7], 24, v[3:4]
	v_lshrrev_b32_e32 v9, 8, v3
	v_lshrrev_b32_e32 v10, 16, v3
	;; [unrolled: 1-line block ×4, first 2 shown]
	v_lshlrev_b16 v3, 1, v3
	v_lshlrev_b16 v17, 1, v9
	;; [unrolled: 1-line block ×4, first 2 shown]
	v_lshrrev_b64 v[7:8], 24, v[1:2]
	v_lshrrev_b32_e32 v13, 24, v4
	v_lshrrev_b32_e32 v14, 8, v1
	;; [unrolled: 1-line block ×4, first 2 shown]
	v_sub_nc_u16 v3, v3, v9
	v_sub_nc_u16 v9, v17, v10
	;; [unrolled: 1-line block ×4, first 2 shown]
	v_lshlrev_b16 v4, 1, v4
	v_lshlrev_b16 v17, 1, v11
	v_lshlrev_b16 v18, 1, v12
	v_lshlrev_b16 v21, 1, v1
	v_lshrrev_b32_e32 v16, 16, v2
	v_lshrrev_b32_e32 v20, 24, v2
	v_lshlrev_b16 v19, 1, v13
	v_sub_nc_u16 v4, v4, v11
	v_sub_nc_u16 v11, v17, v12
	;; [unrolled: 1-line block ×4, first 2 shown]
	v_lshlrev_b16 v14, 1, v14
	v_lshlrev_b16 v17, 1, v15
	;; [unrolled: 1-line block ×3, first 2 shown]
	v_sub_nc_u16 v1, v19, v1
	v_lshlrev_b16 v18, 1, v7
	v_lshlrev_b16 v19, 1, v2
	v_sub_nc_u16 v14, v14, v15
	v_sub_nc_u16 v7, v17, v7
	;; [unrolled: 1-line block ×3, first 2 shown]
	v_and_b32_e32 v3, 0xff, v3
	v_lshlrev_b16 v9, 8, v9
	v_lshlrev_b16 v16, 1, v16
	;; [unrolled: 1-line block ×3, first 2 shown]
	v_sub_nc_u16 v2, v18, v2
	v_sub_nc_u16 v8, v19, v8
	v_and_b32_e32 v6, 0xff, v6
	v_lshlrev_b16 v10, 8, v10
	v_and_b32_e32 v4, 0xff, v4
	v_lshlrev_b16 v11, 8, v11
	v_or_b32_e32 v3, v3, v9
	v_sub_nc_u16 v9, v16, v20
	s_waitcnt lgkmcnt(0)
	v_sub_nc_u16 v5, v17, v5
	v_or_b32_e32 v6, v6, v10
	v_or_b32_e32 v4, v4, v11
	v_and_b32_e32 v10, 0xff, v12
	v_lshlrev_b16 v1, 8, v1
	v_and_b32_e32 v11, 0xff, v13
	v_lshlrev_b16 v12, 8, v14
	;; [unrolled: 2-line block ×5, first 2 shown]
	v_or_b32_e32 v1, v10, v1
	v_or_b32_e32 v10, v11, v12
	;; [unrolled: 1-line block ×5, first 2 shown]
	v_and_b32_e32 v3, 0xffff, v3
	v_lshlrev_b32_e32 v6, 16, v6
	v_and_b32_e32 v4, 0xffff, v4
	v_lshlrev_b32_e32 v1, 16, v1
	;; [unrolled: 2-line block ×4, first 2 shown]
	v_or_b32_e32 v3, v3, v6
	v_or_b32_e32 v4, v4, v1
	;; [unrolled: 1-line block ×3, first 2 shown]
	s_add_i32 s0, s0, -1
	v_or_b32_e32 v2, v7, v5
	s_cmp_lg_u32 s0, 0
	s_barrier
	buffer_gl0_inv
	s_cbranch_scc0 .LBB106_5
.LBB106_3:                              ; =>This Inner Loop Header: Depth=1
	v_mov_b32_e32 v5, 0x7b
	ds_store_b8 v0, v3 offset:256
	s_waitcnt lgkmcnt(0)
	s_barrier
	buffer_gl0_inv
	s_and_saveexec_b32 s1, vcc_lo
	s_cbranch_execz .LBB106_2
; %bb.4:                                ;   in Loop: Header=BB106_3 Depth=1
	ds_load_u8 v5, v0 offset:257
	s_branch .LBB106_2
.LBB106_5:
	s_add_u32 s0, s6, s2
	s_addc_u32 s1, s7, 0
	v_add_co_u32 v5, s0, s0, v0
	s_delay_alu instid0(VALU_DEP_1)
	v_add_co_ci_u32_e64 v6, null, s1, 0, s0
	v_lshrrev_b32_e32 v0, 8, v3
	v_lshrrev_b32_e32 v7, 24, v3
	v_lshrrev_b32_e32 v8, 8, v4
	v_lshrrev_b32_e32 v9, 24, v4
	s_clause 0x7
	global_store_b8 v[5:6], v3, off
	global_store_b8 v[5:6], v0, off offset:256
	global_store_d16_hi_b8 v[5:6], v3, off offset:512
	global_store_b8 v[5:6], v7, off offset:768
	global_store_b8 v[5:6], v4, off offset:1024
	;; [unrolled: 1-line block ×3, first 2 shown]
	global_store_d16_hi_b8 v[5:6], v4, off offset:1536
	global_store_b8 v[5:6], v9, off offset:1792
	v_lshrrev_b32_e32 v0, 8, v1
	v_lshrrev_b32_e32 v3, 24, v1
	;; [unrolled: 1-line block ×4, first 2 shown]
	s_clause 0x7
	global_store_b8 v[5:6], v1, off offset:2048
	global_store_b8 v[5:6], v0, off offset:2304
	global_store_d16_hi_b8 v[5:6], v1, off offset:2560
	global_store_b8 v[5:6], v3, off offset:2816
	global_store_b8 v[5:6], v2, off offset:3072
	;; [unrolled: 1-line block ×3, first 2 shown]
	global_store_d16_hi_b8 v[5:6], v2, off offset:3584
	global_store_b8 v[5:6], v7, off offset:3840
	s_nop 0
	s_sendmsg sendmsg(MSG_DEALLOC_VGPRS)
	s_endpgm
	.section	.rodata,"a",@progbits
	.p2align	6, 0x0
	.amdhsa_kernel _Z6kernelI14subtract_rightLj256ELj16ELb1EJPaS1_jEEvDpT3_
		.amdhsa_group_segment_fixed_size 512
		.amdhsa_private_segment_fixed_size 0
		.amdhsa_kernarg_size 20
		.amdhsa_user_sgpr_count 15
		.amdhsa_user_sgpr_dispatch_ptr 0
		.amdhsa_user_sgpr_queue_ptr 0
		.amdhsa_user_sgpr_kernarg_segment_ptr 1
		.amdhsa_user_sgpr_dispatch_id 0
		.amdhsa_user_sgpr_private_segment_size 0
		.amdhsa_wavefront_size32 1
		.amdhsa_uses_dynamic_stack 0
		.amdhsa_enable_private_segment 0
		.amdhsa_system_sgpr_workgroup_id_x 1
		.amdhsa_system_sgpr_workgroup_id_y 0
		.amdhsa_system_sgpr_workgroup_id_z 0
		.amdhsa_system_sgpr_workgroup_info 0
		.amdhsa_system_vgpr_workitem_id 0
		.amdhsa_next_free_vgpr 22
		.amdhsa_next_free_sgpr 16
		.amdhsa_reserve_vcc 1
		.amdhsa_float_round_mode_32 0
		.amdhsa_float_round_mode_16_64 0
		.amdhsa_float_denorm_mode_32 3
		.amdhsa_float_denorm_mode_16_64 3
		.amdhsa_dx10_clamp 1
		.amdhsa_ieee_mode 1
		.amdhsa_fp16_overflow 0
		.amdhsa_workgroup_processor_mode 1
		.amdhsa_memory_ordered 1
		.amdhsa_forward_progress 0
		.amdhsa_shared_vgpr_count 0
		.amdhsa_exception_fp_ieee_invalid_op 0
		.amdhsa_exception_fp_denorm_src 0
		.amdhsa_exception_fp_ieee_div_zero 0
		.amdhsa_exception_fp_ieee_overflow 0
		.amdhsa_exception_fp_ieee_underflow 0
		.amdhsa_exception_fp_ieee_inexact 0
		.amdhsa_exception_int_div_zero 0
	.end_amdhsa_kernel
	.section	.text._Z6kernelI14subtract_rightLj256ELj16ELb1EJPaS1_jEEvDpT3_,"axG",@progbits,_Z6kernelI14subtract_rightLj256ELj16ELb1EJPaS1_jEEvDpT3_,comdat
.Lfunc_end106:
	.size	_Z6kernelI14subtract_rightLj256ELj16ELb1EJPaS1_jEEvDpT3_, .Lfunc_end106-_Z6kernelI14subtract_rightLj256ELj16ELb1EJPaS1_jEEvDpT3_
                                        ; -- End function
	.section	.AMDGPU.csdata,"",@progbits
; Kernel info:
; codeLenInByte = 1240
; NumSgprs: 18
; NumVgprs: 22
; ScratchSize: 0
; MemoryBound: 0
; FloatMode: 240
; IeeeMode: 1
; LDSByteSize: 512 bytes/workgroup (compile time only)
; SGPRBlocks: 2
; VGPRBlocks: 2
; NumSGPRsForWavesPerEU: 18
; NumVGPRsForWavesPerEU: 22
; Occupancy: 16
; WaveLimiterHint : 1
; COMPUTE_PGM_RSRC2:SCRATCH_EN: 0
; COMPUTE_PGM_RSRC2:USER_SGPR: 15
; COMPUTE_PGM_RSRC2:TRAP_HANDLER: 0
; COMPUTE_PGM_RSRC2:TGID_X_EN: 1
; COMPUTE_PGM_RSRC2:TGID_Y_EN: 0
; COMPUTE_PGM_RSRC2:TGID_Z_EN: 0
; COMPUTE_PGM_RSRC2:TIDIG_COMP_CNT: 0
	.section	.text._Z6kernelI14subtract_rightLj256ELj32ELb1EJPaS1_jEEvDpT3_,"axG",@progbits,_Z6kernelI14subtract_rightLj256ELj32ELb1EJPaS1_jEEvDpT3_,comdat
	.protected	_Z6kernelI14subtract_rightLj256ELj32ELb1EJPaS1_jEEvDpT3_ ; -- Begin function _Z6kernelI14subtract_rightLj256ELj32ELb1EJPaS1_jEEvDpT3_
	.globl	_Z6kernelI14subtract_rightLj256ELj32ELb1EJPaS1_jEEvDpT3_
	.p2align	8
	.type	_Z6kernelI14subtract_rightLj256ELj32ELb1EJPaS1_jEEvDpT3_,@function
_Z6kernelI14subtract_rightLj256ELj32ELb1EJPaS1_jEEvDpT3_: ; @_Z6kernelI14subtract_rightLj256ELj32ELb1EJPaS1_jEEvDpT3_
; %bb.0:
	s_load_b128 s[4:7], s[0:1], 0x0
	s_lshl_b32 s2, s15, 13
	s_load_b32 s0, s[0:1], 0x10
	s_waitcnt lgkmcnt(0)
	s_add_u32 s4, s4, s2
	s_addc_u32 s5, s5, 0
	v_add_co_u32 v1, s1, s4, v0
	s_delay_alu instid0(VALU_DEP_1)
	v_add_co_ci_u32_e64 v2, null, s5, 0, s1
	s_clause 0x7
	global_load_u8 v32, v0, s[4:5]
	global_load_u8 v31, v0, s[4:5] offset:256
	global_load_u8 v30, v0, s[4:5] offset:512
	;; [unrolled: 1-line block ×7, first 2 shown]
	v_add_co_u32 v33, vcc_lo, 0x1000, v1
	v_add_co_ci_u32_e32 v34, vcc_lo, 0, v2, vcc_lo
	s_clause 0x17
	global_load_u8 v24, v0, s[4:5] offset:2048
	global_load_u8 v23, v0, s[4:5] offset:2304
	;; [unrolled: 1-line block ×8, first 2 shown]
	global_load_u8 v16, v[33:34], off
	global_load_u8 v15, v[33:34], off offset:256
	global_load_u8 v14, v[33:34], off offset:512
	;; [unrolled: 1-line block ×15, first 2 shown]
	s_cmp_eq_u32 s0, 0
	s_cbranch_scc1 .LBB107_5
; %bb.1:
	v_cmp_ne_u32_e32 vcc_lo, 0xff, v0
	s_branch .LBB107_3
.LBB107_2:                              ;   in Loop: Header=BB107_3 Depth=1
	s_or_b32 exec_lo, exec_lo, s1
	v_sub_nc_u16 v34, v32, v31
	v_sub_nc_u16 v35, v31, v30
	;; [unrolled: 1-line block ×31, first 2 shown]
	s_waitcnt lgkmcnt(0)
	v_sub_nc_u16 v33, v1, v33
	v_add_nc_u16 v32, v34, v32
	v_add_nc_u16 v31, v35, v31
	v_add_nc_u16 v30, v36, v30
	v_add_nc_u16 v29, v37, v29
	v_add_nc_u16 v28, v38, v28
	v_add_nc_u16 v27, v39, v27
	v_add_nc_u16 v26, v40, v26
	v_add_nc_u16 v25, v41, v25
	v_add_nc_u16 v24, v42, v24
	v_add_nc_u16 v23, v43, v23
	v_add_nc_u16 v22, v44, v22
	v_add_nc_u16 v21, v45, v21
	v_add_nc_u16 v20, v46, v20
	v_add_nc_u16 v19, v47, v19
	v_add_nc_u16 v18, v48, v18
	v_add_nc_u16 v17, v49, v17
	v_add_nc_u16 v16, v50, v16
	v_add_nc_u16 v15, v51, v15
	v_add_nc_u16 v14, v52, v14
	v_add_nc_u16 v13, v53, v13
	v_add_nc_u16 v12, v54, v12
	v_add_nc_u16 v11, v55, v11
	v_add_nc_u16 v10, v56, v10
	v_add_nc_u16 v9, v57, v9
	v_add_nc_u16 v8, v58, v8
	v_add_nc_u16 v7, v59, v7
	v_add_nc_u16 v6, v60, v6
	v_add_nc_u16 v5, v61, v5
	v_add_nc_u16 v4, v62, v4
	v_add_nc_u16 v3, v63, v3
	v_add_nc_u16 v2, v64, v2
	v_add_nc_u16 v1, v33, v1
	s_add_i32 s0, s0, -1
	s_delay_alu instid0(SALU_CYCLE_1)
	s_cmp_lg_u32 s0, 0
	s_barrier
	buffer_gl0_inv
	s_cbranch_scc0 .LBB107_5
.LBB107_3:                              ; =>This Inner Loop Header: Depth=1
	v_mov_b32_e32 v33, 0x7b
	s_waitcnt vmcnt(31)
	ds_store_b8 v0, v32 offset:256
	s_waitcnt vmcnt(0) lgkmcnt(0)
	s_barrier
	buffer_gl0_inv
	s_and_saveexec_b32 s1, vcc_lo
	s_cbranch_execz .LBB107_2
; %bb.4:                                ;   in Loop: Header=BB107_3 Depth=1
	ds_load_u8 v33, v0 offset:257
	s_branch .LBB107_2
.LBB107_5:
	s_add_u32 s0, s6, s2
	s_addc_u32 s1, s7, 0
	v_add_co_u32 v33, s0, s0, v0
	s_delay_alu instid0(VALU_DEP_1)
	v_add_co_ci_u32_e64 v34, null, s1, 0, s0
	s_waitcnt vmcnt(31)
	global_store_b8 v[33:34], v32, off
	s_waitcnt vmcnt(30)
	global_store_b8 v[33:34], v31, off offset:256
	s_waitcnt vmcnt(29)
	global_store_b8 v[33:34], v30, off offset:512
	;; [unrolled: 2-line block ×7, first 2 shown]
	v_add_co_u32 v25, vcc_lo, 0x1000, v33
	v_add_co_ci_u32_e32 v26, vcc_lo, 0, v34, vcc_lo
	s_waitcnt vmcnt(23)
	global_store_b8 v[33:34], v24, off offset:2048
	s_waitcnt vmcnt(22)
	global_store_b8 v[33:34], v23, off offset:2304
	;; [unrolled: 2-line block ×8, first 2 shown]
	s_waitcnt vmcnt(15)
	global_store_b8 v[25:26], v16, off
	s_waitcnt vmcnt(14)
	global_store_b8 v[25:26], v15, off offset:256
	s_waitcnt vmcnt(13)
	global_store_b8 v[25:26], v14, off offset:512
	;; [unrolled: 2-line block ×15, first 2 shown]
	s_nop 0
	s_sendmsg sendmsg(MSG_DEALLOC_VGPRS)
	s_endpgm
	.section	.rodata,"a",@progbits
	.p2align	6, 0x0
	.amdhsa_kernel _Z6kernelI14subtract_rightLj256ELj32ELb1EJPaS1_jEEvDpT3_
		.amdhsa_group_segment_fixed_size 512
		.amdhsa_private_segment_fixed_size 0
		.amdhsa_kernarg_size 20
		.amdhsa_user_sgpr_count 15
		.amdhsa_user_sgpr_dispatch_ptr 0
		.amdhsa_user_sgpr_queue_ptr 0
		.amdhsa_user_sgpr_kernarg_segment_ptr 1
		.amdhsa_user_sgpr_dispatch_id 0
		.amdhsa_user_sgpr_private_segment_size 0
		.amdhsa_wavefront_size32 1
		.amdhsa_uses_dynamic_stack 0
		.amdhsa_enable_private_segment 0
		.amdhsa_system_sgpr_workgroup_id_x 1
		.amdhsa_system_sgpr_workgroup_id_y 0
		.amdhsa_system_sgpr_workgroup_id_z 0
		.amdhsa_system_sgpr_workgroup_info 0
		.amdhsa_system_vgpr_workitem_id 0
		.amdhsa_next_free_vgpr 65
		.amdhsa_next_free_sgpr 16
		.amdhsa_reserve_vcc 1
		.amdhsa_float_round_mode_32 0
		.amdhsa_float_round_mode_16_64 0
		.amdhsa_float_denorm_mode_32 3
		.amdhsa_float_denorm_mode_16_64 3
		.amdhsa_dx10_clamp 1
		.amdhsa_ieee_mode 1
		.amdhsa_fp16_overflow 0
		.amdhsa_workgroup_processor_mode 1
		.amdhsa_memory_ordered 1
		.amdhsa_forward_progress 0
		.amdhsa_shared_vgpr_count 0
		.amdhsa_exception_fp_ieee_invalid_op 0
		.amdhsa_exception_fp_denorm_src 0
		.amdhsa_exception_fp_ieee_div_zero 0
		.amdhsa_exception_fp_ieee_overflow 0
		.amdhsa_exception_fp_ieee_underflow 0
		.amdhsa_exception_fp_ieee_inexact 0
		.amdhsa_exception_int_div_zero 0
	.end_amdhsa_kernel
	.section	.text._Z6kernelI14subtract_rightLj256ELj32ELb1EJPaS1_jEEvDpT3_,"axG",@progbits,_Z6kernelI14subtract_rightLj256ELj32ELb1EJPaS1_jEEvDpT3_,comdat
.Lfunc_end107:
	.size	_Z6kernelI14subtract_rightLj256ELj32ELb1EJPaS1_jEEvDpT3_, .Lfunc_end107-_Z6kernelI14subtract_rightLj256ELj32ELb1EJPaS1_jEEvDpT3_
                                        ; -- End function
	.section	.AMDGPU.csdata,"",@progbits
; Kernel info:
; codeLenInByte = 1396
; NumSgprs: 18
; NumVgprs: 65
; ScratchSize: 0
; MemoryBound: 0
; FloatMode: 240
; IeeeMode: 1
; LDSByteSize: 512 bytes/workgroup (compile time only)
; SGPRBlocks: 2
; VGPRBlocks: 8
; NumSGPRsForWavesPerEU: 18
; NumVGPRsForWavesPerEU: 65
; Occupancy: 16
; WaveLimiterHint : 1
; COMPUTE_PGM_RSRC2:SCRATCH_EN: 0
; COMPUTE_PGM_RSRC2:USER_SGPR: 15
; COMPUTE_PGM_RSRC2:TRAP_HANDLER: 0
; COMPUTE_PGM_RSRC2:TGID_X_EN: 1
; COMPUTE_PGM_RSRC2:TGID_Y_EN: 0
; COMPUTE_PGM_RSRC2:TGID_Z_EN: 0
; COMPUTE_PGM_RSRC2:TIDIG_COMP_CNT: 0
	.section	.text._Z6kernelI14subtract_rightLj256ELj1ELb1EJPxS1_jEEvDpT3_,"axG",@progbits,_Z6kernelI14subtract_rightLj256ELj1ELb1EJPxS1_jEEvDpT3_,comdat
	.protected	_Z6kernelI14subtract_rightLj256ELj1ELb1EJPxS1_jEEvDpT3_ ; -- Begin function _Z6kernelI14subtract_rightLj256ELj1ELb1EJPxS1_jEEvDpT3_
	.globl	_Z6kernelI14subtract_rightLj256ELj1ELb1EJPxS1_jEEvDpT3_
	.p2align	8
	.type	_Z6kernelI14subtract_rightLj256ELj1ELb1EJPxS1_jEEvDpT3_,@function
_Z6kernelI14subtract_rightLj256ELj1ELb1EJPxS1_jEEvDpT3_: ; @_Z6kernelI14subtract_rightLj256ELj1ELb1EJPxS1_jEEvDpT3_
; %bb.0:
	s_load_b128 s[4:7], s[0:1], 0x0
	s_lshl_b32 s2, s15, 8
	s_mov_b32 s3, 0
	v_lshlrev_b32_e32 v5, 3, v0
	s_lshl_b64 s[2:3], s[2:3], 3
	s_load_b32 s1, s[0:1], 0x10
	s_waitcnt lgkmcnt(0)
	s_add_u32 s4, s4, s2
	s_addc_u32 s5, s5, s3
	global_load_b64 v[1:2], v5, s[4:5]
	s_cmp_eq_u32 s1, 0
	s_cbranch_scc1 .LBB108_5
; %bb.1:
	v_cmp_ne_u32_e32 vcc_lo, 0xff, v0
	v_or_b32_e32 v0, 0x800, v5
	s_branch .LBB108_3
	.p2align	6
.LBB108_2:                              ;   in Loop: Header=BB108_3 Depth=1
	s_or_b32 exec_lo, exec_lo, s0
	v_lshlrev_b64 v[1:2], 1, v[1:2]
	s_add_i32 s1, s1, -1
	s_waitcnt lgkmcnt(0)
	s_cmp_lg_u32 s1, 0
	s_barrier
	buffer_gl0_inv
	v_sub_co_u32 v1, s0, v1, v3
	s_delay_alu instid0(VALU_DEP_1)
	v_sub_co_ci_u32_e64 v2, s0, v2, v4, s0
	s_cbranch_scc0 .LBB108_5
.LBB108_3:                              ; =>This Inner Loop Header: Depth=1
	v_mov_b32_e32 v3, 0x7b
	v_mov_b32_e32 v4, 0
	s_waitcnt vmcnt(0)
	ds_store_b64 v5, v[1:2] offset:2048
	s_waitcnt lgkmcnt(0)
	s_barrier
	buffer_gl0_inv
	s_and_saveexec_b32 s0, vcc_lo
	s_cbranch_execz .LBB108_2
; %bb.4:                                ;   in Loop: Header=BB108_3 Depth=1
	ds_load_b64 v[3:4], v0 offset:8
	s_branch .LBB108_2
.LBB108_5:
	s_add_u32 s0, s6, s2
	s_addc_u32 s1, s7, s3
	s_waitcnt vmcnt(0)
	global_store_b64 v5, v[1:2], s[0:1]
	s_nop 0
	s_sendmsg sendmsg(MSG_DEALLOC_VGPRS)
	s_endpgm
	.section	.rodata,"a",@progbits
	.p2align	6, 0x0
	.amdhsa_kernel _Z6kernelI14subtract_rightLj256ELj1ELb1EJPxS1_jEEvDpT3_
		.amdhsa_group_segment_fixed_size 4096
		.amdhsa_private_segment_fixed_size 0
		.amdhsa_kernarg_size 20
		.amdhsa_user_sgpr_count 15
		.amdhsa_user_sgpr_dispatch_ptr 0
		.amdhsa_user_sgpr_queue_ptr 0
		.amdhsa_user_sgpr_kernarg_segment_ptr 1
		.amdhsa_user_sgpr_dispatch_id 0
		.amdhsa_user_sgpr_private_segment_size 0
		.amdhsa_wavefront_size32 1
		.amdhsa_uses_dynamic_stack 0
		.amdhsa_enable_private_segment 0
		.amdhsa_system_sgpr_workgroup_id_x 1
		.amdhsa_system_sgpr_workgroup_id_y 0
		.amdhsa_system_sgpr_workgroup_id_z 0
		.amdhsa_system_sgpr_workgroup_info 0
		.amdhsa_system_vgpr_workitem_id 0
		.amdhsa_next_free_vgpr 6
		.amdhsa_next_free_sgpr 16
		.amdhsa_reserve_vcc 1
		.amdhsa_float_round_mode_32 0
		.amdhsa_float_round_mode_16_64 0
		.amdhsa_float_denorm_mode_32 3
		.amdhsa_float_denorm_mode_16_64 3
		.amdhsa_dx10_clamp 1
		.amdhsa_ieee_mode 1
		.amdhsa_fp16_overflow 0
		.amdhsa_workgroup_processor_mode 1
		.amdhsa_memory_ordered 1
		.amdhsa_forward_progress 0
		.amdhsa_shared_vgpr_count 0
		.amdhsa_exception_fp_ieee_invalid_op 0
		.amdhsa_exception_fp_denorm_src 0
		.amdhsa_exception_fp_ieee_div_zero 0
		.amdhsa_exception_fp_ieee_overflow 0
		.amdhsa_exception_fp_ieee_underflow 0
		.amdhsa_exception_fp_ieee_inexact 0
		.amdhsa_exception_int_div_zero 0
	.end_amdhsa_kernel
	.section	.text._Z6kernelI14subtract_rightLj256ELj1ELb1EJPxS1_jEEvDpT3_,"axG",@progbits,_Z6kernelI14subtract_rightLj256ELj1ELb1EJPxS1_jEEvDpT3_,comdat
.Lfunc_end108:
	.size	_Z6kernelI14subtract_rightLj256ELj1ELb1EJPxS1_jEEvDpT3_, .Lfunc_end108-_Z6kernelI14subtract_rightLj256ELj1ELb1EJPxS1_jEEvDpT3_
                                        ; -- End function
	.section	.AMDGPU.csdata,"",@progbits
; Kernel info:
; codeLenInByte = 232
; NumSgprs: 18
; NumVgprs: 6
; ScratchSize: 0
; MemoryBound: 0
; FloatMode: 240
; IeeeMode: 1
; LDSByteSize: 4096 bytes/workgroup (compile time only)
; SGPRBlocks: 2
; VGPRBlocks: 0
; NumSGPRsForWavesPerEU: 18
; NumVGPRsForWavesPerEU: 6
; Occupancy: 16
; WaveLimiterHint : 0
; COMPUTE_PGM_RSRC2:SCRATCH_EN: 0
; COMPUTE_PGM_RSRC2:USER_SGPR: 15
; COMPUTE_PGM_RSRC2:TRAP_HANDLER: 0
; COMPUTE_PGM_RSRC2:TGID_X_EN: 1
; COMPUTE_PGM_RSRC2:TGID_Y_EN: 0
; COMPUTE_PGM_RSRC2:TGID_Z_EN: 0
; COMPUTE_PGM_RSRC2:TIDIG_COMP_CNT: 0
	.section	.text._Z6kernelI14subtract_rightLj256ELj3ELb1EJPxS1_jEEvDpT3_,"axG",@progbits,_Z6kernelI14subtract_rightLj256ELj3ELb1EJPxS1_jEEvDpT3_,comdat
	.protected	_Z6kernelI14subtract_rightLj256ELj3ELb1EJPxS1_jEEvDpT3_ ; -- Begin function _Z6kernelI14subtract_rightLj256ELj3ELb1EJPxS1_jEEvDpT3_
	.globl	_Z6kernelI14subtract_rightLj256ELj3ELb1EJPxS1_jEEvDpT3_
	.p2align	8
	.type	_Z6kernelI14subtract_rightLj256ELj3ELb1EJPxS1_jEEvDpT3_,@function
_Z6kernelI14subtract_rightLj256ELj3ELb1EJPxS1_jEEvDpT3_: ; @_Z6kernelI14subtract_rightLj256ELj3ELb1EJPxS1_jEEvDpT3_
; %bb.0:
	s_load_b128 s[4:7], s[0:1], 0x0
	s_mov_b32 s3, 0
	s_mul_i32 s2, s15, 0x300
	v_lshlrev_b32_e32 v9, 3, v0
	s_lshl_b64 s[2:3], s[2:3], 3
	s_load_b32 s1, s[0:1], 0x10
	s_waitcnt lgkmcnt(0)
	s_add_u32 s4, s4, s2
	s_addc_u32 s5, s5, s3
	v_add_co_u32 v1, s0, s4, v9
	s_delay_alu instid0(VALU_DEP_1) | instskip(SKIP_1) | instid1(VALU_DEP_2)
	v_add_co_ci_u32_e64 v2, null, s5, 0, s0
	s_cmp_eq_u32 s1, 0
	v_add_co_u32 v3, vcc_lo, 0x1000, v1
	s_delay_alu instid0(VALU_DEP_2)
	v_add_co_ci_u32_e32 v4, vcc_lo, 0, v2, vcc_lo
	s_clause 0x2
	global_load_b64 v[5:6], v9, s[4:5]
	global_load_b64 v[1:2], v9, s[4:5] offset:2048
	global_load_b64 v[3:4], v[3:4], off
	s_cbranch_scc1 .LBB109_5
; %bb.1:
	v_cmp_ne_u32_e32 vcc_lo, 0xff, v0
	v_or_b32_e32 v0, 0x800, v9
	s_set_inst_prefetch_distance 0x1
	s_branch .LBB109_3
	.p2align	6
.LBB109_2:                              ;   in Loop: Header=BB109_3 Depth=1
	s_or_b32 exec_lo, exec_lo, s0
	v_lshlrev_b64 v[5:6], 1, v[5:6]
	v_lshlrev_b64 v[10:11], 1, v[1:2]
	;; [unrolled: 1-line block ×3, first 2 shown]
	s_add_i32 s1, s1, -1
	s_waitcnt lgkmcnt(0)
	s_cmp_lg_u32 s1, 0
	v_sub_co_u32 v5, s0, v5, v1
	s_delay_alu instid0(VALU_DEP_1) | instskip(SKIP_1) | instid1(VALU_DEP_1)
	v_sub_co_ci_u32_e64 v6, s0, v6, v2, s0
	v_sub_co_u32 v1, s0, v10, v3
	v_sub_co_ci_u32_e64 v2, s0, v11, v4, s0
	v_sub_co_u32 v3, s0, v12, v7
	s_delay_alu instid0(VALU_DEP_1)
	v_sub_co_ci_u32_e64 v4, s0, v13, v8, s0
	s_barrier
	buffer_gl0_inv
	s_cbranch_scc0 .LBB109_5
.LBB109_3:                              ; =>This Inner Loop Header: Depth=1
	v_mov_b32_e32 v7, 0x7b
	v_mov_b32_e32 v8, 0
	s_waitcnt vmcnt(2)
	ds_store_b64 v9, v[5:6] offset:2048
	s_waitcnt vmcnt(0) lgkmcnt(0)
	s_barrier
	buffer_gl0_inv
	s_and_saveexec_b32 s0, vcc_lo
	s_cbranch_execz .LBB109_2
; %bb.4:                                ;   in Loop: Header=BB109_3 Depth=1
	ds_load_b64 v[7:8], v0 offset:8
	s_branch .LBB109_2
.LBB109_5:
	s_set_inst_prefetch_distance 0x2
	s_add_u32 s0, s6, s2
	s_addc_u32 s1, s7, s3
	v_add_co_u32 v0, s2, s0, v9
	s_delay_alu instid0(VALU_DEP_1) | instskip(NEXT) | instid1(VALU_DEP_2)
	v_add_co_ci_u32_e64 v8, null, s1, 0, s2
	v_add_co_u32 v7, vcc_lo, 0x1000, v0
	s_delay_alu instid0(VALU_DEP_2)
	v_add_co_ci_u32_e32 v8, vcc_lo, 0, v8, vcc_lo
	s_waitcnt vmcnt(2)
	global_store_b64 v9, v[5:6], s[0:1]
	s_waitcnt vmcnt(1)
	global_store_b64 v9, v[1:2], s[0:1] offset:2048
	s_waitcnt vmcnt(0)
	global_store_b64 v[7:8], v[3:4], off
	s_nop 0
	s_sendmsg sendmsg(MSG_DEALLOC_VGPRS)
	s_endpgm
	.section	.rodata,"a",@progbits
	.p2align	6, 0x0
	.amdhsa_kernel _Z6kernelI14subtract_rightLj256ELj3ELb1EJPxS1_jEEvDpT3_
		.amdhsa_group_segment_fixed_size 4096
		.amdhsa_private_segment_fixed_size 0
		.amdhsa_kernarg_size 20
		.amdhsa_user_sgpr_count 15
		.amdhsa_user_sgpr_dispatch_ptr 0
		.amdhsa_user_sgpr_queue_ptr 0
		.amdhsa_user_sgpr_kernarg_segment_ptr 1
		.amdhsa_user_sgpr_dispatch_id 0
		.amdhsa_user_sgpr_private_segment_size 0
		.amdhsa_wavefront_size32 1
		.amdhsa_uses_dynamic_stack 0
		.amdhsa_enable_private_segment 0
		.amdhsa_system_sgpr_workgroup_id_x 1
		.amdhsa_system_sgpr_workgroup_id_y 0
		.amdhsa_system_sgpr_workgroup_id_z 0
		.amdhsa_system_sgpr_workgroup_info 0
		.amdhsa_system_vgpr_workitem_id 0
		.amdhsa_next_free_vgpr 14
		.amdhsa_next_free_sgpr 16
		.amdhsa_reserve_vcc 1
		.amdhsa_float_round_mode_32 0
		.amdhsa_float_round_mode_16_64 0
		.amdhsa_float_denorm_mode_32 3
		.amdhsa_float_denorm_mode_16_64 3
		.amdhsa_dx10_clamp 1
		.amdhsa_ieee_mode 1
		.amdhsa_fp16_overflow 0
		.amdhsa_workgroup_processor_mode 1
		.amdhsa_memory_ordered 1
		.amdhsa_forward_progress 0
		.amdhsa_shared_vgpr_count 0
		.amdhsa_exception_fp_ieee_invalid_op 0
		.amdhsa_exception_fp_denorm_src 0
		.amdhsa_exception_fp_ieee_div_zero 0
		.amdhsa_exception_fp_ieee_overflow 0
		.amdhsa_exception_fp_ieee_underflow 0
		.amdhsa_exception_fp_ieee_inexact 0
		.amdhsa_exception_int_div_zero 0
	.end_amdhsa_kernel
	.section	.text._Z6kernelI14subtract_rightLj256ELj3ELb1EJPxS1_jEEvDpT3_,"axG",@progbits,_Z6kernelI14subtract_rightLj256ELj3ELb1EJPxS1_jEEvDpT3_,comdat
.Lfunc_end109:
	.size	_Z6kernelI14subtract_rightLj256ELj3ELb1EJPxS1_jEEvDpT3_, .Lfunc_end109-_Z6kernelI14subtract_rightLj256ELj3ELb1EJPxS1_jEEvDpT3_
                                        ; -- End function
	.section	.AMDGPU.csdata,"",@progbits
; Kernel info:
; codeLenInByte = 420
; NumSgprs: 18
; NumVgprs: 14
; ScratchSize: 0
; MemoryBound: 0
; FloatMode: 240
; IeeeMode: 1
; LDSByteSize: 4096 bytes/workgroup (compile time only)
; SGPRBlocks: 2
; VGPRBlocks: 1
; NumSGPRsForWavesPerEU: 18
; NumVGPRsForWavesPerEU: 14
; Occupancy: 16
; WaveLimiterHint : 1
; COMPUTE_PGM_RSRC2:SCRATCH_EN: 0
; COMPUTE_PGM_RSRC2:USER_SGPR: 15
; COMPUTE_PGM_RSRC2:TRAP_HANDLER: 0
; COMPUTE_PGM_RSRC2:TGID_X_EN: 1
; COMPUTE_PGM_RSRC2:TGID_Y_EN: 0
; COMPUTE_PGM_RSRC2:TGID_Z_EN: 0
; COMPUTE_PGM_RSRC2:TIDIG_COMP_CNT: 0
	.section	.text._Z6kernelI14subtract_rightLj256ELj4ELb1EJPxS1_jEEvDpT3_,"axG",@progbits,_Z6kernelI14subtract_rightLj256ELj4ELb1EJPxS1_jEEvDpT3_,comdat
	.protected	_Z6kernelI14subtract_rightLj256ELj4ELb1EJPxS1_jEEvDpT3_ ; -- Begin function _Z6kernelI14subtract_rightLj256ELj4ELb1EJPxS1_jEEvDpT3_
	.globl	_Z6kernelI14subtract_rightLj256ELj4ELb1EJPxS1_jEEvDpT3_
	.p2align	8
	.type	_Z6kernelI14subtract_rightLj256ELj4ELb1EJPxS1_jEEvDpT3_,@function
_Z6kernelI14subtract_rightLj256ELj4ELb1EJPxS1_jEEvDpT3_: ; @_Z6kernelI14subtract_rightLj256ELj4ELb1EJPxS1_jEEvDpT3_
; %bb.0:
	s_load_b128 s[4:7], s[0:1], 0x0
	s_mov_b32 s3, 0
	s_lshl_b32 s2, s15, 10
	v_lshlrev_b32_e32 v11, 3, v0
	s_lshl_b64 s[2:3], s[2:3], 3
	s_load_b32 s1, s[0:1], 0x10
	s_waitcnt lgkmcnt(0)
	s_add_u32 s4, s4, s2
	s_addc_u32 s5, s5, s3
	v_add_co_u32 v1, s0, s4, v11
	s_delay_alu instid0(VALU_DEP_1) | instskip(SKIP_1) | instid1(VALU_DEP_2)
	v_add_co_ci_u32_e64 v2, null, s5, 0, s0
	s_cmp_eq_u32 s1, 0
	v_add_co_u32 v3, vcc_lo, 0x1000, v1
	s_delay_alu instid0(VALU_DEP_2)
	v_add_co_ci_u32_e32 v4, vcc_lo, 0, v2, vcc_lo
	s_clause 0x3
	global_load_b64 v[7:8], v11, s[4:5]
	global_load_b64 v[1:2], v11, s[4:5] offset:2048
	global_load_b64 v[5:6], v[3:4], off
	global_load_b64 v[3:4], v[3:4], off offset:2048
	s_cbranch_scc1 .LBB110_5
; %bb.1:
	v_cmp_ne_u32_e32 vcc_lo, 0xff, v0
	v_or_b32_e32 v0, 0x800, v11
	s_set_inst_prefetch_distance 0x1
	s_branch .LBB110_3
	.p2align	6
.LBB110_2:                              ;   in Loop: Header=BB110_3 Depth=1
	s_or_b32 exec_lo, exec_lo, s0
	v_lshlrev_b64 v[7:8], 1, v[7:8]
	v_lshlrev_b64 v[12:13], 1, v[1:2]
	;; [unrolled: 1-line block ×3, first 2 shown]
	s_add_i32 s1, s1, -1
	s_waitcnt lgkmcnt(0)
	s_cmp_lg_u32 s1, 0
	v_sub_co_u32 v7, s0, v7, v1
	s_delay_alu instid0(VALU_DEP_1) | instskip(SKIP_1) | instid1(VALU_DEP_1)
	v_sub_co_ci_u32_e64 v8, s0, v8, v2, s0
	v_sub_co_u32 v1, s0, v12, v5
	v_sub_co_ci_u32_e64 v2, s0, v13, v6, s0
	v_lshlrev_b64 v[12:13], 1, v[3:4]
	v_sub_co_u32 v5, s0, v14, v3
	s_delay_alu instid0(VALU_DEP_1) | instskip(SKIP_1) | instid1(VALU_DEP_3)
	v_sub_co_ci_u32_e64 v6, s0, v15, v4, s0
	s_barrier
	v_sub_co_u32 v3, s0, v12, v9
	s_delay_alu instid0(VALU_DEP_1)
	v_sub_co_ci_u32_e64 v4, s0, v13, v10, s0
	buffer_gl0_inv
	s_cbranch_scc0 .LBB110_5
.LBB110_3:                              ; =>This Inner Loop Header: Depth=1
	v_mov_b32_e32 v9, 0x7b
	v_mov_b32_e32 v10, 0
	s_waitcnt vmcnt(3)
	ds_store_b64 v11, v[7:8] offset:2048
	s_waitcnt vmcnt(0) lgkmcnt(0)
	s_barrier
	buffer_gl0_inv
	s_and_saveexec_b32 s0, vcc_lo
	s_cbranch_execz .LBB110_2
; %bb.4:                                ;   in Loop: Header=BB110_3 Depth=1
	ds_load_b64 v[9:10], v0 offset:8
	s_branch .LBB110_2
.LBB110_5:
	s_set_inst_prefetch_distance 0x2
	s_add_u32 s0, s6, s2
	s_addc_u32 s1, s7, s3
	v_add_co_u32 v0, s2, s0, v11
	s_delay_alu instid0(VALU_DEP_1) | instskip(NEXT) | instid1(VALU_DEP_2)
	v_add_co_ci_u32_e64 v10, null, s1, 0, s2
	v_add_co_u32 v9, vcc_lo, 0x1000, v0
	s_delay_alu instid0(VALU_DEP_2)
	v_add_co_ci_u32_e32 v10, vcc_lo, 0, v10, vcc_lo
	s_waitcnt vmcnt(3)
	global_store_b64 v11, v[7:8], s[0:1]
	s_waitcnt vmcnt(2)
	global_store_b64 v11, v[1:2], s[0:1] offset:2048
	s_waitcnt vmcnt(1)
	global_store_b64 v[9:10], v[5:6], off
	s_waitcnt vmcnt(0)
	global_store_b64 v[9:10], v[3:4], off offset:2048
	s_nop 0
	s_sendmsg sendmsg(MSG_DEALLOC_VGPRS)
	s_endpgm
	.section	.rodata,"a",@progbits
	.p2align	6, 0x0
	.amdhsa_kernel _Z6kernelI14subtract_rightLj256ELj4ELb1EJPxS1_jEEvDpT3_
		.amdhsa_group_segment_fixed_size 4096
		.amdhsa_private_segment_fixed_size 0
		.amdhsa_kernarg_size 20
		.amdhsa_user_sgpr_count 15
		.amdhsa_user_sgpr_dispatch_ptr 0
		.amdhsa_user_sgpr_queue_ptr 0
		.amdhsa_user_sgpr_kernarg_segment_ptr 1
		.amdhsa_user_sgpr_dispatch_id 0
		.amdhsa_user_sgpr_private_segment_size 0
		.amdhsa_wavefront_size32 1
		.amdhsa_uses_dynamic_stack 0
		.amdhsa_enable_private_segment 0
		.amdhsa_system_sgpr_workgroup_id_x 1
		.amdhsa_system_sgpr_workgroup_id_y 0
		.amdhsa_system_sgpr_workgroup_id_z 0
		.amdhsa_system_sgpr_workgroup_info 0
		.amdhsa_system_vgpr_workitem_id 0
		.amdhsa_next_free_vgpr 16
		.amdhsa_next_free_sgpr 16
		.amdhsa_reserve_vcc 1
		.amdhsa_float_round_mode_32 0
		.amdhsa_float_round_mode_16_64 0
		.amdhsa_float_denorm_mode_32 3
		.amdhsa_float_denorm_mode_16_64 3
		.amdhsa_dx10_clamp 1
		.amdhsa_ieee_mode 1
		.amdhsa_fp16_overflow 0
		.amdhsa_workgroup_processor_mode 1
		.amdhsa_memory_ordered 1
		.amdhsa_forward_progress 0
		.amdhsa_shared_vgpr_count 0
		.amdhsa_exception_fp_ieee_invalid_op 0
		.amdhsa_exception_fp_denorm_src 0
		.amdhsa_exception_fp_ieee_div_zero 0
		.amdhsa_exception_fp_ieee_overflow 0
		.amdhsa_exception_fp_ieee_underflow 0
		.amdhsa_exception_fp_ieee_inexact 0
		.amdhsa_exception_int_div_zero 0
	.end_amdhsa_kernel
	.section	.text._Z6kernelI14subtract_rightLj256ELj4ELb1EJPxS1_jEEvDpT3_,"axG",@progbits,_Z6kernelI14subtract_rightLj256ELj4ELb1EJPxS1_jEEvDpT3_,comdat
.Lfunc_end110:
	.size	_Z6kernelI14subtract_rightLj256ELj4ELb1EJPxS1_jEEvDpT3_, .Lfunc_end110-_Z6kernelI14subtract_rightLj256ELj4ELb1EJPxS1_jEEvDpT3_
                                        ; -- End function
	.section	.AMDGPU.csdata,"",@progbits
; Kernel info:
; codeLenInByte = 464
; NumSgprs: 18
; NumVgprs: 16
; ScratchSize: 0
; MemoryBound: 0
; FloatMode: 240
; IeeeMode: 1
; LDSByteSize: 4096 bytes/workgroup (compile time only)
; SGPRBlocks: 2
; VGPRBlocks: 1
; NumSGPRsForWavesPerEU: 18
; NumVGPRsForWavesPerEU: 16
; Occupancy: 16
; WaveLimiterHint : 1
; COMPUTE_PGM_RSRC2:SCRATCH_EN: 0
; COMPUTE_PGM_RSRC2:USER_SGPR: 15
; COMPUTE_PGM_RSRC2:TRAP_HANDLER: 0
; COMPUTE_PGM_RSRC2:TGID_X_EN: 1
; COMPUTE_PGM_RSRC2:TGID_Y_EN: 0
; COMPUTE_PGM_RSRC2:TGID_Z_EN: 0
; COMPUTE_PGM_RSRC2:TIDIG_COMP_CNT: 0
	.section	.text._Z6kernelI14subtract_rightLj256ELj8ELb1EJPxS1_jEEvDpT3_,"axG",@progbits,_Z6kernelI14subtract_rightLj256ELj8ELb1EJPxS1_jEEvDpT3_,comdat
	.protected	_Z6kernelI14subtract_rightLj256ELj8ELb1EJPxS1_jEEvDpT3_ ; -- Begin function _Z6kernelI14subtract_rightLj256ELj8ELb1EJPxS1_jEEvDpT3_
	.globl	_Z6kernelI14subtract_rightLj256ELj8ELb1EJPxS1_jEEvDpT3_
	.p2align	8
	.type	_Z6kernelI14subtract_rightLj256ELj8ELb1EJPxS1_jEEvDpT3_,@function
_Z6kernelI14subtract_rightLj256ELj8ELb1EJPxS1_jEEvDpT3_: ; @_Z6kernelI14subtract_rightLj256ELj8ELb1EJPxS1_jEEvDpT3_
; %bb.0:
	s_load_b128 s[4:7], s[0:1], 0x0
	s_mov_b32 s3, 0
	s_lshl_b32 s2, s15, 11
	v_lshlrev_b32_e32 v19, 3, v0
	s_lshl_b64 s[2:3], s[2:3], 3
	s_load_b32 s1, s[0:1], 0x10
	s_waitcnt lgkmcnt(0)
	s_add_u32 s4, s4, s2
	s_addc_u32 s5, s5, s3
	v_add_co_u32 v1, s0, s4, v19
	s_delay_alu instid0(VALU_DEP_1) | instskip(SKIP_1) | instid1(VALU_DEP_2)
	v_add_co_ci_u32_e64 v2, null, s5, 0, s0
	s_cmp_eq_u32 s1, 0
	v_add_co_u32 v5, vcc_lo, 0x1000, v1
	s_delay_alu instid0(VALU_DEP_2)
	v_add_co_ci_u32_e32 v6, vcc_lo, 0, v2, vcc_lo
	v_add_co_u32 v13, vcc_lo, v1, 0x2000
	v_add_co_ci_u32_e32 v14, vcc_lo, 0, v2, vcc_lo
	v_add_co_u32 v9, vcc_lo, 0x2000, v1
	;; [unrolled: 2-line block ×3, first 2 shown]
	v_add_co_ci_u32_e32 v18, vcc_lo, 0, v2, vcc_lo
	s_clause 0x7
	global_load_b64 v[15:16], v[13:14], off
	global_load_b64 v[1:2], v19, s[4:5]
	global_load_b64 v[3:4], v19, s[4:5] offset:2048
	global_load_b64 v[7:8], v[5:6], off offset:2048
	global_load_b64 v[9:10], v[9:10], off offset:2048
	global_load_b64 v[11:12], v[17:18], off
	global_load_b64 v[5:6], v[13:14], off offset:-4096
	global_load_b64 v[13:14], v[17:18], off offset:2048
	s_cbranch_scc1 .LBB111_5
; %bb.1:
	v_cmp_ne_u32_e32 vcc_lo, 0xff, v0
	v_or_b32_e32 v0, 0x800, v19
	s_branch .LBB111_3
.LBB111_2:                              ;   in Loop: Header=BB111_3 Depth=1
	s_or_b32 exec_lo, exec_lo, s0
	v_sub_co_u32 v20, s0, v1, v3
	s_delay_alu instid0(VALU_DEP_1) | instskip(SKIP_1) | instid1(VALU_DEP_1)
	v_sub_co_ci_u32_e64 v21, s0, v2, v4, s0
	v_sub_co_u32 v22, s0, v3, v5
	v_sub_co_ci_u32_e64 v23, s0, v4, v6, s0
	v_sub_co_u32 v24, s0, v5, v7
	s_delay_alu instid0(VALU_DEP_1) | instskip(SKIP_1) | instid1(VALU_DEP_1)
	v_sub_co_ci_u32_e64 v25, s0, v6, v8, s0
	v_sub_co_u32 v26, s0, v7, v15
	v_sub_co_ci_u32_e64 v27, s0, v8, v16, s0
	;; [unrolled: 5-line block ×3, first 2 shown]
	v_sub_co_u32 v32, s0, v11, v13
	s_delay_alu instid0(VALU_DEP_1) | instskip(SKIP_2) | instid1(VALU_DEP_1)
	v_sub_co_ci_u32_e64 v33, s0, v12, v14, s0
	s_waitcnt lgkmcnt(0)
	v_sub_co_u32 v17, s0, v13, v17
	v_sub_co_ci_u32_e64 v18, s0, v14, v18, s0
	v_add_co_u32 v1, s0, v20, v1
	s_delay_alu instid0(VALU_DEP_1) | instskip(SKIP_1) | instid1(VALU_DEP_1)
	v_add_co_ci_u32_e64 v2, s0, v21, v2, s0
	v_add_co_u32 v3, s0, v22, v3
	v_add_co_ci_u32_e64 v4, s0, v23, v4, s0
	v_add_co_u32 v5, s0, v24, v5
	s_delay_alu instid0(VALU_DEP_1) | instskip(SKIP_1) | instid1(VALU_DEP_1)
	v_add_co_ci_u32_e64 v6, s0, v25, v6, s0
	v_add_co_u32 v7, s0, v26, v7
	v_add_co_ci_u32_e64 v8, s0, v27, v8, s0
	;; [unrolled: 5-line block ×4, first 2 shown]
	s_add_i32 s1, s1, -1
	s_delay_alu instid0(SALU_CYCLE_1)
	s_cmp_lg_u32 s1, 0
	s_barrier
	buffer_gl0_inv
	s_cbranch_scc0 .LBB111_5
.LBB111_3:                              ; =>This Inner Loop Header: Depth=1
	v_mov_b32_e32 v17, 0x7b
	v_mov_b32_e32 v18, 0
	s_waitcnt vmcnt(6)
	ds_store_b64 v19, v[1:2] offset:2048
	s_waitcnt vmcnt(0) lgkmcnt(0)
	s_barrier
	buffer_gl0_inv
	s_and_saveexec_b32 s0, vcc_lo
	s_cbranch_execz .LBB111_2
; %bb.4:                                ;   in Loop: Header=BB111_3 Depth=1
	ds_load_b64 v[17:18], v0 offset:8
	s_branch .LBB111_2
.LBB111_5:
	s_add_u32 s0, s6, s2
	s_addc_u32 s1, s7, s3
	v_add_co_u32 v0, s2, s0, v19
	s_delay_alu instid0(VALU_DEP_1) | instskip(NEXT) | instid1(VALU_DEP_2)
	v_add_co_ci_u32_e64 v24, null, s1, 0, s2
	v_add_co_u32 v17, vcc_lo, 0x1000, v0
	s_delay_alu instid0(VALU_DEP_2)
	v_add_co_ci_u32_e32 v18, vcc_lo, 0, v24, vcc_lo
	v_add_co_u32 v20, vcc_lo, v0, 0x2000
	v_add_co_ci_u32_e32 v21, vcc_lo, 0, v24, vcc_lo
	v_add_co_u32 v22, vcc_lo, 0x2000, v0
	v_add_co_ci_u32_e32 v23, vcc_lo, 0, v24, vcc_lo
	s_waitcnt vmcnt(7)
	global_store_b64 v[20:21], v[15:16], off
	v_add_co_u32 v15, vcc_lo, 0x3000, v0
	v_add_co_ci_u32_e32 v16, vcc_lo, 0, v24, vcc_lo
	s_waitcnt vmcnt(6)
	global_store_b64 v19, v[1:2], s[0:1]
	s_waitcnt vmcnt(5)
	global_store_b64 v19, v[3:4], s[0:1] offset:2048
	s_waitcnt vmcnt(4)
	global_store_b64 v[17:18], v[7:8], off offset:2048
	s_waitcnt vmcnt(3)
	global_store_b64 v[22:23], v[9:10], off offset:2048
	s_waitcnt vmcnt(2)
	global_store_b64 v[15:16], v[11:12], off
	s_waitcnt vmcnt(1)
	global_store_b64 v[20:21], v[5:6], off offset:-4096
	s_waitcnt vmcnt(0)
	global_store_b64 v[15:16], v[13:14], off offset:2048
	s_nop 0
	s_sendmsg sendmsg(MSG_DEALLOC_VGPRS)
	s_endpgm
	.section	.rodata,"a",@progbits
	.p2align	6, 0x0
	.amdhsa_kernel _Z6kernelI14subtract_rightLj256ELj8ELb1EJPxS1_jEEvDpT3_
		.amdhsa_group_segment_fixed_size 4096
		.amdhsa_private_segment_fixed_size 0
		.amdhsa_kernarg_size 20
		.amdhsa_user_sgpr_count 15
		.amdhsa_user_sgpr_dispatch_ptr 0
		.amdhsa_user_sgpr_queue_ptr 0
		.amdhsa_user_sgpr_kernarg_segment_ptr 1
		.amdhsa_user_sgpr_dispatch_id 0
		.amdhsa_user_sgpr_private_segment_size 0
		.amdhsa_wavefront_size32 1
		.amdhsa_uses_dynamic_stack 0
		.amdhsa_enable_private_segment 0
		.amdhsa_system_sgpr_workgroup_id_x 1
		.amdhsa_system_sgpr_workgroup_id_y 0
		.amdhsa_system_sgpr_workgroup_id_z 0
		.amdhsa_system_sgpr_workgroup_info 0
		.amdhsa_system_vgpr_workitem_id 0
		.amdhsa_next_free_vgpr 34
		.amdhsa_next_free_sgpr 16
		.amdhsa_reserve_vcc 1
		.amdhsa_float_round_mode_32 0
		.amdhsa_float_round_mode_16_64 0
		.amdhsa_float_denorm_mode_32 3
		.amdhsa_float_denorm_mode_16_64 3
		.amdhsa_dx10_clamp 1
		.amdhsa_ieee_mode 1
		.amdhsa_fp16_overflow 0
		.amdhsa_workgroup_processor_mode 1
		.amdhsa_memory_ordered 1
		.amdhsa_forward_progress 0
		.amdhsa_shared_vgpr_count 0
		.amdhsa_exception_fp_ieee_invalid_op 0
		.amdhsa_exception_fp_denorm_src 0
		.amdhsa_exception_fp_ieee_div_zero 0
		.amdhsa_exception_fp_ieee_overflow 0
		.amdhsa_exception_fp_ieee_underflow 0
		.amdhsa_exception_fp_ieee_inexact 0
		.amdhsa_exception_int_div_zero 0
	.end_amdhsa_kernel
	.section	.text._Z6kernelI14subtract_rightLj256ELj8ELb1EJPxS1_jEEvDpT3_,"axG",@progbits,_Z6kernelI14subtract_rightLj256ELj8ELb1EJPxS1_jEEvDpT3_,comdat
.Lfunc_end111:
	.size	_Z6kernelI14subtract_rightLj256ELj8ELb1EJPxS1_jEEvDpT3_, .Lfunc_end111-_Z6kernelI14subtract_rightLj256ELj8ELb1EJPxS1_jEEvDpT3_
                                        ; -- End function
	.section	.AMDGPU.csdata,"",@progbits
; Kernel info:
; codeLenInByte = 816
; NumSgprs: 18
; NumVgprs: 34
; ScratchSize: 0
; MemoryBound: 0
; FloatMode: 240
; IeeeMode: 1
; LDSByteSize: 4096 bytes/workgroup (compile time only)
; SGPRBlocks: 2
; VGPRBlocks: 4
; NumSGPRsForWavesPerEU: 18
; NumVGPRsForWavesPerEU: 34
; Occupancy: 16
; WaveLimiterHint : 1
; COMPUTE_PGM_RSRC2:SCRATCH_EN: 0
; COMPUTE_PGM_RSRC2:USER_SGPR: 15
; COMPUTE_PGM_RSRC2:TRAP_HANDLER: 0
; COMPUTE_PGM_RSRC2:TGID_X_EN: 1
; COMPUTE_PGM_RSRC2:TGID_Y_EN: 0
; COMPUTE_PGM_RSRC2:TGID_Z_EN: 0
; COMPUTE_PGM_RSRC2:TIDIG_COMP_CNT: 0
	.section	.text._Z6kernelI14subtract_rightLj256ELj16ELb1EJPxS1_jEEvDpT3_,"axG",@progbits,_Z6kernelI14subtract_rightLj256ELj16ELb1EJPxS1_jEEvDpT3_,comdat
	.protected	_Z6kernelI14subtract_rightLj256ELj16ELb1EJPxS1_jEEvDpT3_ ; -- Begin function _Z6kernelI14subtract_rightLj256ELj16ELb1EJPxS1_jEEvDpT3_
	.globl	_Z6kernelI14subtract_rightLj256ELj16ELb1EJPxS1_jEEvDpT3_
	.p2align	8
	.type	_Z6kernelI14subtract_rightLj256ELj16ELb1EJPxS1_jEEvDpT3_,@function
_Z6kernelI14subtract_rightLj256ELj16ELb1EJPxS1_jEEvDpT3_: ; @_Z6kernelI14subtract_rightLj256ELj16ELb1EJPxS1_jEEvDpT3_
; %bb.0:
	s_load_b128 s[4:7], s[0:1], 0x0
	s_mov_b32 s3, 0
	s_lshl_b32 s2, s15, 12
	v_lshlrev_b32_e32 v35, 3, v0
	s_lshl_b64 s[2:3], s[2:3], 3
	s_load_b32 s1, s[0:1], 0x10
	s_waitcnt lgkmcnt(0)
	s_add_u32 s4, s4, s2
	s_addc_u32 s5, s5, s3
	v_add_co_u32 v19, s0, s4, v35
	s_delay_alu instid0(VALU_DEP_1) | instskip(SKIP_1) | instid1(VALU_DEP_2)
	v_add_co_ci_u32_e64 v20, null, s5, 0, s0
	s_cmp_eq_u32 s1, 0
	v_add_co_u32 v1, vcc_lo, 0x1000, v19
	s_delay_alu instid0(VALU_DEP_2)
	v_add_co_ci_u32_e32 v2, vcc_lo, 0, v20, vcc_lo
	v_add_co_u32 v21, vcc_lo, v19, 0x2000
	v_add_co_ci_u32_e32 v22, vcc_lo, 0, v20, vcc_lo
	v_add_co_u32 v3, vcc_lo, 0x2000, v19
	;; [unrolled: 2-line block ×3, first 2 shown]
	v_add_co_ci_u32_e32 v6, vcc_lo, 0, v20, vcc_lo
	s_clause 0x4
	global_load_b64 v[29:30], v[21:22], off
	global_load_b64 v[23:24], v35, s[4:5]
	global_load_b64 v[25:26], v35, s[4:5] offset:2048
	global_load_b64 v[27:28], v[1:2], off offset:2048
	global_load_b64 v[31:32], v[3:4], off offset:2048
	v_add_co_u32 v1, vcc_lo, v19, 0x4000
	v_add_co_ci_u32_e32 v2, vcc_lo, 0, v20, vcc_lo
	v_add_co_u32 v9, vcc_lo, 0x4000, v19
	v_add_co_ci_u32_e32 v10, vcc_lo, 0, v20, vcc_lo
	;; [unrolled: 2-line block ×6, first 2 shown]
	s_clause 0xa
	global_load_b64 v[3:4], v[1:2], off offset:-4096
	global_load_b64 v[7:8], v[1:2], off
	global_load_b64 v[11:12], v[15:16], off offset:-4096
	global_load_b64 v[15:16], v[15:16], off
	global_load_b64 v[5:6], v[5:6], off offset:2048
	global_load_b64 v[9:10], v[9:10], off offset:2048
	;; [unrolled: 1-line block ×4, first 2 shown]
	global_load_b64 v[19:20], v[33:34], off
	global_load_b64 v[1:2], v[21:22], off offset:-4096
	global_load_b64 v[21:22], v[33:34], off offset:2048
	s_cbranch_scc1 .LBB112_5
; %bb.1:
	v_cmp_ne_u32_e32 vcc_lo, 0xff, v0
	v_or_b32_e32 v0, 0x800, v35
	s_branch .LBB112_3
.LBB112_2:                              ;   in Loop: Header=BB112_3 Depth=1
	s_or_b32 exec_lo, exec_lo, s0
	v_sub_co_u32 v36, s0, v23, v25
	s_delay_alu instid0(VALU_DEP_1) | instskip(SKIP_1) | instid1(VALU_DEP_1)
	v_sub_co_ci_u32_e64 v37, s0, v24, v26, s0
	v_sub_co_u32 v38, s0, v25, v1
	v_sub_co_ci_u32_e64 v39, s0, v26, v2, s0
	v_sub_co_u32 v40, s0, v1, v27
	s_delay_alu instid0(VALU_DEP_1) | instskip(SKIP_1) | instid1(VALU_DEP_1)
	v_sub_co_ci_u32_e64 v41, s0, v2, v28, s0
	v_sub_co_u32 v42, s0, v27, v29
	v_sub_co_ci_u32_e64 v43, s0, v28, v30, s0
	;; [unrolled: 5-line block ×7, first 2 shown]
	v_sub_co_u32 v64, s0, v19, v21
	s_delay_alu instid0(VALU_DEP_1) | instskip(SKIP_2) | instid1(VALU_DEP_1)
	v_sub_co_ci_u32_e64 v65, s0, v20, v22, s0
	s_waitcnt lgkmcnt(0)
	v_sub_co_u32 v33, s0, v21, v33
	v_sub_co_ci_u32_e64 v34, s0, v22, v34, s0
	v_add_co_u32 v23, s0, v36, v23
	s_delay_alu instid0(VALU_DEP_1) | instskip(SKIP_1) | instid1(VALU_DEP_1)
	v_add_co_ci_u32_e64 v24, s0, v37, v24, s0
	v_add_co_u32 v25, s0, v38, v25
	v_add_co_ci_u32_e64 v26, s0, v39, v26, s0
	v_add_co_u32 v1, s0, v40, v1
	s_delay_alu instid0(VALU_DEP_1) | instskip(SKIP_1) | instid1(VALU_DEP_1)
	v_add_co_ci_u32_e64 v2, s0, v41, v2, s0
	v_add_co_u32 v27, s0, v42, v27
	v_add_co_ci_u32_e64 v28, s0, v43, v28, s0
	;; [unrolled: 5-line block ×8, first 2 shown]
	s_add_i32 s1, s1, -1
	s_delay_alu instid0(SALU_CYCLE_1)
	s_cmp_lg_u32 s1, 0
	s_barrier
	buffer_gl0_inv
	s_cbranch_scc0 .LBB112_5
.LBB112_3:                              ; =>This Inner Loop Header: Depth=1
	v_mov_b32_e32 v33, 0x7b
	v_mov_b32_e32 v34, 0
	s_waitcnt vmcnt(14)
	ds_store_b64 v35, v[23:24] offset:2048
	s_waitcnt vmcnt(0) lgkmcnt(0)
	s_barrier
	buffer_gl0_inv
	s_and_saveexec_b32 s0, vcc_lo
	s_cbranch_execz .LBB112_2
; %bb.4:                                ;   in Loop: Header=BB112_3 Depth=1
	ds_load_b64 v[33:34], v0 offset:8
	s_branch .LBB112_2
.LBB112_5:
	s_add_u32 s0, s6, s2
	s_addc_u32 s1, s7, s3
	v_add_co_u32 v0, s2, s0, v35
	s_delay_alu instid0(VALU_DEP_1) | instskip(NEXT) | instid1(VALU_DEP_2)
	v_add_co_ci_u32_e64 v40, null, s1, 0, s2
	v_add_co_u32 v33, vcc_lo, 0x1000, v0
	s_delay_alu instid0(VALU_DEP_2)
	v_add_co_ci_u32_e32 v34, vcc_lo, 0, v40, vcc_lo
	v_add_co_u32 v36, vcc_lo, v0, 0x2000
	v_add_co_ci_u32_e32 v37, vcc_lo, 0, v40, vcc_lo
	v_add_co_u32 v38, vcc_lo, 0x2000, v0
	v_add_co_ci_u32_e32 v39, vcc_lo, 0, v40, vcc_lo
	s_waitcnt vmcnt(15)
	global_store_b64 v[36:37], v[29:30], off
	s_waitcnt vmcnt(14)
	global_store_b64 v35, v[23:24], s[0:1]
	s_waitcnt vmcnt(13)
	global_store_b64 v35, v[25:26], s[0:1] offset:2048
	s_waitcnt vmcnt(12)
	global_store_b64 v[33:34], v[27:28], off offset:2048
	s_waitcnt vmcnt(11)
	global_store_b64 v[38:39], v[31:32], off offset:2048
	v_add_co_u32 v23, vcc_lo, 0x3000, v0
	v_add_co_ci_u32_e32 v24, vcc_lo, 0, v40, vcc_lo
	v_add_co_u32 v25, vcc_lo, v0, 0x4000
	v_add_co_ci_u32_e32 v26, vcc_lo, 0, v40, vcc_lo
	v_add_co_u32 v27, vcc_lo, 0x4000, v0
	v_add_co_ci_u32_e32 v28, vcc_lo, 0, v40, vcc_lo
	v_add_co_u32 v29, vcc_lo, 0x5000, v0
	v_add_co_ci_u32_e32 v30, vcc_lo, 0, v40, vcc_lo
	v_add_co_u32 v31, vcc_lo, v0, 0x6000
	v_add_co_ci_u32_e32 v32, vcc_lo, 0, v40, vcc_lo
	v_add_co_u32 v33, vcc_lo, 0x6000, v0
	v_add_co_ci_u32_e32 v34, vcc_lo, 0, v40, vcc_lo
	s_waitcnt vmcnt(10)
	global_store_b64 v[25:26], v[3:4], off offset:-4096
	s_waitcnt vmcnt(9)
	global_store_b64 v[25:26], v[7:8], off
	s_waitcnt vmcnt(8)
	global_store_b64 v[31:32], v[11:12], off offset:-4096
	s_waitcnt vmcnt(7)
	global_store_b64 v[31:32], v[15:16], off
	v_add_co_u32 v3, vcc_lo, 0x7000, v0
	v_add_co_ci_u32_e32 v4, vcc_lo, 0, v40, vcc_lo
	s_waitcnt vmcnt(6)
	global_store_b64 v[23:24], v[5:6], off offset:2048
	s_waitcnt vmcnt(5)
	global_store_b64 v[27:28], v[9:10], off offset:2048
	s_waitcnt vmcnt(4)
	global_store_b64 v[29:30], v[13:14], off offset:2048
	s_waitcnt vmcnt(3)
	global_store_b64 v[33:34], v[17:18], off offset:2048
	s_waitcnt vmcnt(2)
	global_store_b64 v[3:4], v[19:20], off
	s_waitcnt vmcnt(1)
	global_store_b64 v[36:37], v[1:2], off offset:-4096
	s_waitcnt vmcnt(0)
	global_store_b64 v[3:4], v[21:22], off offset:2048
	s_nop 0
	s_sendmsg sendmsg(MSG_DEALLOC_VGPRS)
	s_endpgm
	.section	.rodata,"a",@progbits
	.p2align	6, 0x0
	.amdhsa_kernel _Z6kernelI14subtract_rightLj256ELj16ELb1EJPxS1_jEEvDpT3_
		.amdhsa_group_segment_fixed_size 4096
		.amdhsa_private_segment_fixed_size 0
		.amdhsa_kernarg_size 20
		.amdhsa_user_sgpr_count 15
		.amdhsa_user_sgpr_dispatch_ptr 0
		.amdhsa_user_sgpr_queue_ptr 0
		.amdhsa_user_sgpr_kernarg_segment_ptr 1
		.amdhsa_user_sgpr_dispatch_id 0
		.amdhsa_user_sgpr_private_segment_size 0
		.amdhsa_wavefront_size32 1
		.amdhsa_uses_dynamic_stack 0
		.amdhsa_enable_private_segment 0
		.amdhsa_system_sgpr_workgroup_id_x 1
		.amdhsa_system_sgpr_workgroup_id_y 0
		.amdhsa_system_sgpr_workgroup_id_z 0
		.amdhsa_system_sgpr_workgroup_info 0
		.amdhsa_system_vgpr_workitem_id 0
		.amdhsa_next_free_vgpr 66
		.amdhsa_next_free_sgpr 16
		.amdhsa_reserve_vcc 1
		.amdhsa_float_round_mode_32 0
		.amdhsa_float_round_mode_16_64 0
		.amdhsa_float_denorm_mode_32 3
		.amdhsa_float_denorm_mode_16_64 3
		.amdhsa_dx10_clamp 1
		.amdhsa_ieee_mode 1
		.amdhsa_fp16_overflow 0
		.amdhsa_workgroup_processor_mode 1
		.amdhsa_memory_ordered 1
		.amdhsa_forward_progress 0
		.amdhsa_shared_vgpr_count 0
		.amdhsa_exception_fp_ieee_invalid_op 0
		.amdhsa_exception_fp_denorm_src 0
		.amdhsa_exception_fp_ieee_div_zero 0
		.amdhsa_exception_fp_ieee_overflow 0
		.amdhsa_exception_fp_ieee_underflow 0
		.amdhsa_exception_fp_ieee_inexact 0
		.amdhsa_exception_int_div_zero 0
	.end_amdhsa_kernel
	.section	.text._Z6kernelI14subtract_rightLj256ELj16ELb1EJPxS1_jEEvDpT3_,"axG",@progbits,_Z6kernelI14subtract_rightLj256ELj16ELb1EJPxS1_jEEvDpT3_,comdat
.Lfunc_end112:
	.size	_Z6kernelI14subtract_rightLj256ELj16ELb1EJPxS1_jEEvDpT3_, .Lfunc_end112-_Z6kernelI14subtract_rightLj256ELj16ELb1EJPxS1_jEEvDpT3_
                                        ; -- End function
	.section	.AMDGPU.csdata,"",@progbits
; Kernel info:
; codeLenInByte = 1460
; NumSgprs: 18
; NumVgprs: 66
; ScratchSize: 0
; MemoryBound: 0
; FloatMode: 240
; IeeeMode: 1
; LDSByteSize: 4096 bytes/workgroup (compile time only)
; SGPRBlocks: 2
; VGPRBlocks: 8
; NumSGPRsForWavesPerEU: 18
; NumVGPRsForWavesPerEU: 66
; Occupancy: 16
; WaveLimiterHint : 1
; COMPUTE_PGM_RSRC2:SCRATCH_EN: 0
; COMPUTE_PGM_RSRC2:USER_SGPR: 15
; COMPUTE_PGM_RSRC2:TRAP_HANDLER: 0
; COMPUTE_PGM_RSRC2:TGID_X_EN: 1
; COMPUTE_PGM_RSRC2:TGID_Y_EN: 0
; COMPUTE_PGM_RSRC2:TGID_Z_EN: 0
; COMPUTE_PGM_RSRC2:TIDIG_COMP_CNT: 0
	.section	.text._Z6kernelI14subtract_rightLj256ELj32ELb1EJPxS1_jEEvDpT3_,"axG",@progbits,_Z6kernelI14subtract_rightLj256ELj32ELb1EJPxS1_jEEvDpT3_,comdat
	.protected	_Z6kernelI14subtract_rightLj256ELj32ELb1EJPxS1_jEEvDpT3_ ; -- Begin function _Z6kernelI14subtract_rightLj256ELj32ELb1EJPxS1_jEEvDpT3_
	.globl	_Z6kernelI14subtract_rightLj256ELj32ELb1EJPxS1_jEEvDpT3_
	.p2align	8
	.type	_Z6kernelI14subtract_rightLj256ELj32ELb1EJPxS1_jEEvDpT3_,@function
_Z6kernelI14subtract_rightLj256ELj32ELb1EJPxS1_jEEvDpT3_: ; @_Z6kernelI14subtract_rightLj256ELj32ELb1EJPxS1_jEEvDpT3_
; %bb.0:
	s_load_b128 s[4:7], s[0:1], 0x0
	s_mov_b32 s3, 0
	s_lshl_b32 s2, s15, 13
	v_lshlrev_b32_e32 v67, 3, v0
	s_lshl_b64 s[2:3], s[2:3], 3
	s_load_b32 s1, s[0:1], 0x10
	s_waitcnt lgkmcnt(0)
	s_add_u32 s4, s4, s2
	s_addc_u32 s5, s5, s3
	v_add_co_u32 v51, s0, s4, v67
	s_delay_alu instid0(VALU_DEP_1) | instskip(SKIP_1) | instid1(VALU_DEP_2)
	v_add_co_ci_u32_e64 v52, null, s5, 0, s0
	s_cmp_eq_u32 s1, 0
	v_add_co_u32 v1, vcc_lo, 0x1000, v51
	s_delay_alu instid0(VALU_DEP_2)
	v_add_co_ci_u32_e32 v2, vcc_lo, 0, v52, vcc_lo
	v_add_co_u32 v53, vcc_lo, v51, 0x2000
	v_add_co_ci_u32_e32 v54, vcc_lo, 0, v52, vcc_lo
	v_add_co_u32 v3, vcc_lo, 0x2000, v51
	;; [unrolled: 2-line block ×3, first 2 shown]
	v_add_co_ci_u32_e32 v6, vcc_lo, 0, v52, vcc_lo
	s_clause 0x4
	global_load_b64 v[61:62], v[53:54], off
	global_load_b64 v[55:56], v67, s[4:5]
	global_load_b64 v[57:58], v67, s[4:5] offset:2048
	global_load_b64 v[59:60], v[1:2], off offset:2048
	global_load_b64 v[63:64], v[3:4], off offset:2048
	v_add_co_u32 v1, vcc_lo, v51, 0x4000
	v_add_co_ci_u32_e32 v2, vcc_lo, 0, v52, vcc_lo
	v_add_co_u32 v9, vcc_lo, 0x4000, v51
	v_add_co_ci_u32_e32 v10, vcc_lo, 0, v52, vcc_lo
	;; [unrolled: 2-line block ×5, first 2 shown]
	s_clause 0x7
	global_load_b64 v[3:4], v[1:2], off offset:-4096
	global_load_b64 v[7:8], v[1:2], off
	global_load_b64 v[11:12], v[15:16], off offset:-4096
	global_load_b64 v[15:16], v[15:16], off
	global_load_b64 v[5:6], v[5:6], off offset:2048
	global_load_b64 v[9:10], v[9:10], off offset:2048
	;; [unrolled: 1-line block ×4, first 2 shown]
	v_add_co_u32 v1, vcc_lo, 0x7000, v51
	v_add_co_ci_u32_e32 v2, vcc_lo, 0, v52, vcc_lo
	v_add_co_u32 v21, vcc_lo, v51, 0x8000
	v_add_co_ci_u32_e32 v22, vcc_lo, 0, v52, vcc_lo
	;; [unrolled: 2-line block ×6, first 2 shown]
	s_clause 0x7
	global_load_b64 v[19:20], v[21:22], off offset:-4096
	global_load_b64 v[23:24], v[21:22], off
	global_load_b64 v[27:28], v[31:32], off offset:-4096
	global_load_b64 v[31:32], v[31:32], off
	global_load_b64 v[21:22], v[1:2], off offset:2048
	global_load_b64 v[25:26], v[25:26], off offset:2048
	;; [unrolled: 1-line block ×4, first 2 shown]
	v_add_co_u32 v1, vcc_lo, 0xb000, v51
	v_add_co_ci_u32_e32 v2, vcc_lo, 0, v52, vcc_lo
	v_add_co_u32 v37, vcc_lo, v51, 0xc000
	v_add_co_ci_u32_e32 v38, vcc_lo, 0, v52, vcc_lo
	;; [unrolled: 2-line block ×7, first 2 shown]
	s_clause 0xa
	global_load_b64 v[35:36], v[37:38], off offset:-4096
	global_load_b64 v[39:40], v[37:38], off
	global_load_b64 v[43:44], v[47:48], off offset:-4096
	global_load_b64 v[47:48], v[47:48], off
	global_load_b64 v[37:38], v[1:2], off offset:2048
	global_load_b64 v[41:42], v[41:42], off offset:2048
	global_load_b64 v[45:46], v[45:46], off offset:2048
	global_load_b64 v[49:50], v[49:50], off offset:2048
	global_load_b64 v[51:52], v[65:66], off
	global_load_b64 v[1:2], v[53:54], off offset:-4096
	global_load_b64 v[53:54], v[65:66], off offset:2048
	s_cbranch_scc1 .LBB113_5
; %bb.1:
	v_cmp_ne_u32_e32 vcc_lo, 0xff, v0
	v_or_b32_e32 v0, 0x800, v67
	s_branch .LBB113_3
.LBB113_2:                              ;   in Loop: Header=BB113_3 Depth=1
	s_or_b32 exec_lo, exec_lo, s0
	v_sub_co_u32 v68, s0, v55, v57
	s_delay_alu instid0(VALU_DEP_1) | instskip(SKIP_1) | instid1(VALU_DEP_1)
	v_sub_co_ci_u32_e64 v69, s0, v56, v58, s0
	v_sub_co_u32 v70, s0, v57, v1
	v_sub_co_ci_u32_e64 v71, s0, v58, v2, s0
	v_sub_co_u32 v72, s0, v1, v59
	s_delay_alu instid0(VALU_DEP_1) | instskip(SKIP_1) | instid1(VALU_DEP_1)
	v_sub_co_ci_u32_e64 v73, s0, v2, v60, s0
	v_sub_co_u32 v74, s0, v59, v61
	v_sub_co_ci_u32_e64 v75, s0, v60, v62, s0
	;; [unrolled: 5-line block ×6, first 2 shown]
	s_waitcnt lgkmcnt(0)
	v_sub_co_u32 v65, s0, v53, v65
	s_delay_alu instid0(VALU_DEP_1) | instskip(SKIP_1) | instid1(VALU_DEP_1)
	v_sub_co_ci_u32_e64 v66, s0, v54, v66, s0
	v_sub_co_u32 v92, s0, v15, v17
	v_sub_co_ci_u32_e64 v93, s0, v16, v18, s0
	v_add_co_u32 v55, s0, v68, v55
	s_delay_alu instid0(VALU_DEP_1) | instskip(SKIP_1) | instid1(VALU_DEP_1)
	v_add_co_ci_u32_e64 v56, s0, v69, v56, s0
	v_sub_co_u32 v68, s0, v17, v19
	v_sub_co_ci_u32_e64 v69, s0, v18, v20, s0
	v_add_co_u32 v57, s0, v70, v57
	s_delay_alu instid0(VALU_DEP_1) | instskip(SKIP_1) | instid1(VALU_DEP_1)
	v_add_co_ci_u32_e64 v58, s0, v71, v58, s0
	;; [unrolled: 5-line block ×19, first 2 shown]
	v_add_co_u32 v29, s0, v80, v29
	v_add_co_ci_u32_e64 v30, s0, v81, v30, s0
	v_add_co_u32 v31, s0, v82, v31
	s_delay_alu instid0(VALU_DEP_1) | instskip(SKIP_1) | instid1(VALU_DEP_1)
	v_add_co_ci_u32_e64 v32, s0, v83, v32, s0
	v_add_co_u32 v33, s0, v84, v33
	v_add_co_ci_u32_e64 v34, s0, v85, v34, s0
	v_add_co_u32 v35, s0, v86, v35
	s_delay_alu instid0(VALU_DEP_1) | instskip(SKIP_1) | instid1(VALU_DEP_1)
	v_add_co_ci_u32_e64 v36, s0, v87, v36, s0
	;; [unrolled: 5-line block ×6, first 2 shown]
	v_add_co_u32 v53, s0, v65, v53
	v_add_co_ci_u32_e64 v54, s0, v66, v54, s0
	s_add_i32 s1, s1, -1
	s_delay_alu instid0(SALU_CYCLE_1)
	s_cmp_lg_u32 s1, 0
	s_barrier
	buffer_gl0_inv
	s_cbranch_scc0 .LBB113_5
.LBB113_3:                              ; =>This Inner Loop Header: Depth=1
	v_mov_b32_e32 v65, 0x7b
	v_mov_b32_e32 v66, 0
	s_waitcnt vmcnt(30)
	ds_store_b64 v67, v[55:56] offset:2048
	s_waitcnt vmcnt(0) lgkmcnt(0)
	s_barrier
	buffer_gl0_inv
	s_and_saveexec_b32 s0, vcc_lo
	s_cbranch_execz .LBB113_2
; %bb.4:                                ;   in Loop: Header=BB113_3 Depth=1
	ds_load_b64 v[65:66], v0 offset:8
	s_branch .LBB113_2
.LBB113_5:
	s_add_u32 s0, s6, s2
	s_addc_u32 s1, s7, s3
	v_add_co_u32 v0, s2, s0, v67
	s_delay_alu instid0(VALU_DEP_1) | instskip(NEXT) | instid1(VALU_DEP_2)
	v_add_co_ci_u32_e64 v72, null, s1, 0, s2
	v_add_co_u32 v65, vcc_lo, 0x1000, v0
	s_delay_alu instid0(VALU_DEP_2)
	v_add_co_ci_u32_e32 v66, vcc_lo, 0, v72, vcc_lo
	v_add_co_u32 v68, vcc_lo, v0, 0x2000
	v_add_co_ci_u32_e32 v69, vcc_lo, 0, v72, vcc_lo
	v_add_co_u32 v70, vcc_lo, 0x2000, v0
	v_add_co_ci_u32_e32 v71, vcc_lo, 0, v72, vcc_lo
	s_waitcnt vmcnt(31)
	global_store_b64 v[68:69], v[61:62], off
	s_waitcnt vmcnt(30)
	global_store_b64 v67, v[55:56], s[0:1]
	s_waitcnt vmcnt(29)
	global_store_b64 v67, v[57:58], s[0:1] offset:2048
	s_waitcnt vmcnt(28)
	global_store_b64 v[65:66], v[59:60], off offset:2048
	s_waitcnt vmcnt(27)
	global_store_b64 v[70:71], v[63:64], off offset:2048
	v_add_co_u32 v55, vcc_lo, 0x3000, v0
	v_add_co_ci_u32_e32 v56, vcc_lo, 0, v72, vcc_lo
	v_add_co_u32 v57, vcc_lo, v0, 0x4000
	v_add_co_ci_u32_e32 v58, vcc_lo, 0, v72, vcc_lo
	;; [unrolled: 2-line block ×6, first 2 shown]
	s_waitcnt vmcnt(26)
	global_store_b64 v[57:58], v[3:4], off offset:-4096
	s_waitcnt vmcnt(25)
	global_store_b64 v[57:58], v[7:8], off
	s_waitcnt vmcnt(24)
	global_store_b64 v[63:64], v[11:12], off offset:-4096
	s_waitcnt vmcnt(23)
	global_store_b64 v[63:64], v[15:16], off
	s_waitcnt vmcnt(22)
	global_store_b64 v[55:56], v[5:6], off offset:2048
	s_waitcnt vmcnt(21)
	global_store_b64 v[59:60], v[9:10], off offset:2048
	;; [unrolled: 2-line block ×4, first 2 shown]
	v_add_co_u32 v3, vcc_lo, 0x7000, v0
	v_add_co_ci_u32_e32 v4, vcc_lo, 0, v72, vcc_lo
	v_add_co_u32 v5, vcc_lo, v0, 0x8000
	v_add_co_ci_u32_e32 v6, vcc_lo, 0, v72, vcc_lo
	;; [unrolled: 2-line block ×6, first 2 shown]
	s_waitcnt vmcnt(18)
	global_store_b64 v[5:6], v[19:20], off offset:-4096
	s_waitcnt vmcnt(17)
	global_store_b64 v[5:6], v[23:24], off
	s_waitcnt vmcnt(16)
	global_store_b64 v[11:12], v[27:28], off offset:-4096
	s_waitcnt vmcnt(15)
	global_store_b64 v[11:12], v[31:32], off
	s_waitcnt vmcnt(14)
	global_store_b64 v[3:4], v[21:22], off offset:2048
	s_waitcnt vmcnt(13)
	global_store_b64 v[7:8], v[25:26], off offset:2048
	;; [unrolled: 2-line block ×4, first 2 shown]
	v_add_co_u32 v3, vcc_lo, 0xb000, v0
	v_add_co_ci_u32_e32 v4, vcc_lo, 0, v72, vcc_lo
	v_add_co_u32 v5, vcc_lo, v0, 0xc000
	v_add_co_ci_u32_e32 v6, vcc_lo, 0, v72, vcc_lo
	;; [unrolled: 2-line block ×6, first 2 shown]
	s_waitcnt vmcnt(10)
	global_store_b64 v[5:6], v[35:36], off offset:-4096
	s_waitcnt vmcnt(9)
	global_store_b64 v[5:6], v[39:40], off
	s_waitcnt vmcnt(8)
	global_store_b64 v[11:12], v[43:44], off offset:-4096
	s_waitcnt vmcnt(7)
	global_store_b64 v[11:12], v[47:48], off
	v_add_co_u32 v5, vcc_lo, 0xf000, v0
	v_add_co_ci_u32_e32 v6, vcc_lo, 0, v72, vcc_lo
	s_waitcnt vmcnt(6)
	global_store_b64 v[3:4], v[37:38], off offset:2048
	s_waitcnt vmcnt(5)
	global_store_b64 v[7:8], v[41:42], off offset:2048
	;; [unrolled: 2-line block ×4, first 2 shown]
	s_waitcnt vmcnt(2)
	global_store_b64 v[5:6], v[51:52], off
	s_waitcnt vmcnt(1)
	global_store_b64 v[68:69], v[1:2], off offset:-4096
	s_waitcnt vmcnt(0)
	global_store_b64 v[5:6], v[53:54], off offset:2048
	s_nop 0
	s_sendmsg sendmsg(MSG_DEALLOC_VGPRS)
	s_endpgm
	.section	.rodata,"a",@progbits
	.p2align	6, 0x0
	.amdhsa_kernel _Z6kernelI14subtract_rightLj256ELj32ELb1EJPxS1_jEEvDpT3_
		.amdhsa_group_segment_fixed_size 4096
		.amdhsa_private_segment_fixed_size 0
		.amdhsa_kernarg_size 20
		.amdhsa_user_sgpr_count 15
		.amdhsa_user_sgpr_dispatch_ptr 0
		.amdhsa_user_sgpr_queue_ptr 0
		.amdhsa_user_sgpr_kernarg_segment_ptr 1
		.amdhsa_user_sgpr_dispatch_id 0
		.amdhsa_user_sgpr_private_segment_size 0
		.amdhsa_wavefront_size32 1
		.amdhsa_uses_dynamic_stack 0
		.amdhsa_enable_private_segment 0
		.amdhsa_system_sgpr_workgroup_id_x 1
		.amdhsa_system_sgpr_workgroup_id_y 0
		.amdhsa_system_sgpr_workgroup_id_z 0
		.amdhsa_system_sgpr_workgroup_info 0
		.amdhsa_system_vgpr_workitem_id 0
		.amdhsa_next_free_vgpr 94
		.amdhsa_next_free_sgpr 16
		.amdhsa_reserve_vcc 1
		.amdhsa_float_round_mode_32 0
		.amdhsa_float_round_mode_16_64 0
		.amdhsa_float_denorm_mode_32 3
		.amdhsa_float_denorm_mode_16_64 3
		.amdhsa_dx10_clamp 1
		.amdhsa_ieee_mode 1
		.amdhsa_fp16_overflow 0
		.amdhsa_workgroup_processor_mode 1
		.amdhsa_memory_ordered 1
		.amdhsa_forward_progress 0
		.amdhsa_shared_vgpr_count 0
		.amdhsa_exception_fp_ieee_invalid_op 0
		.amdhsa_exception_fp_denorm_src 0
		.amdhsa_exception_fp_ieee_div_zero 0
		.amdhsa_exception_fp_ieee_overflow 0
		.amdhsa_exception_fp_ieee_underflow 0
		.amdhsa_exception_fp_ieee_inexact 0
		.amdhsa_exception_int_div_zero 0
	.end_amdhsa_kernel
	.section	.text._Z6kernelI14subtract_rightLj256ELj32ELb1EJPxS1_jEEvDpT3_,"axG",@progbits,_Z6kernelI14subtract_rightLj256ELj32ELb1EJPxS1_jEEvDpT3_,comdat
.Lfunc_end113:
	.size	_Z6kernelI14subtract_rightLj256ELj32ELb1EJPxS1_jEEvDpT3_, .Lfunc_end113-_Z6kernelI14subtract_rightLj256ELj32ELb1EJPxS1_jEEvDpT3_
                                        ; -- End function
	.section	.AMDGPU.csdata,"",@progbits
; Kernel info:
; codeLenInByte = 2748
; NumSgprs: 18
; NumVgprs: 94
; ScratchSize: 0
; MemoryBound: 0
; FloatMode: 240
; IeeeMode: 1
; LDSByteSize: 4096 bytes/workgroup (compile time only)
; SGPRBlocks: 2
; VGPRBlocks: 11
; NumSGPRsForWavesPerEU: 18
; NumVGPRsForWavesPerEU: 94
; Occupancy: 16
; WaveLimiterHint : 1
; COMPUTE_PGM_RSRC2:SCRATCH_EN: 0
; COMPUTE_PGM_RSRC2:USER_SGPR: 15
; COMPUTE_PGM_RSRC2:TRAP_HANDLER: 0
; COMPUTE_PGM_RSRC2:TGID_X_EN: 1
; COMPUTE_PGM_RSRC2:TGID_Y_EN: 0
; COMPUTE_PGM_RSRC2:TGID_Z_EN: 0
; COMPUTE_PGM_RSRC2:TIDIG_COMP_CNT: 0
	.section	.text._Z6kernelI14subtract_rightLj256ELj1ELb1EJPdS1_jEEvDpT3_,"axG",@progbits,_Z6kernelI14subtract_rightLj256ELj1ELb1EJPdS1_jEEvDpT3_,comdat
	.protected	_Z6kernelI14subtract_rightLj256ELj1ELb1EJPdS1_jEEvDpT3_ ; -- Begin function _Z6kernelI14subtract_rightLj256ELj1ELb1EJPdS1_jEEvDpT3_
	.globl	_Z6kernelI14subtract_rightLj256ELj1ELb1EJPdS1_jEEvDpT3_
	.p2align	8
	.type	_Z6kernelI14subtract_rightLj256ELj1ELb1EJPdS1_jEEvDpT3_,@function
_Z6kernelI14subtract_rightLj256ELj1ELb1EJPdS1_jEEvDpT3_: ; @_Z6kernelI14subtract_rightLj256ELj1ELb1EJPdS1_jEEvDpT3_
; %bb.0:
	s_load_b128 s[4:7], s[0:1], 0x0
	s_lshl_b32 s2, s15, 8
	s_mov_b32 s3, 0
	v_lshlrev_b32_e32 v5, 3, v0
	s_lshl_b64 s[2:3], s[2:3], 3
	s_load_b32 s0, s[0:1], 0x10
	s_waitcnt lgkmcnt(0)
	s_add_u32 s4, s4, s2
	s_addc_u32 s5, s5, s3
	global_load_b64 v[1:2], v5, s[4:5]
	s_cmp_eq_u32 s0, 0
	s_cbranch_scc1 .LBB114_5
; %bb.1:
	v_cmp_ne_u32_e32 vcc_lo, 0xff, v0
	v_or_b32_e32 v0, 0x800, v5
	s_branch .LBB114_3
	.p2align	6
.LBB114_2:                              ;   in Loop: Header=BB114_3 Depth=1
	s_or_b32 exec_lo, exec_lo, s1
	s_waitcnt lgkmcnt(0)
	v_add_f64 v[3:4], v[1:2], -v[3:4]
	s_add_i32 s0, s0, -1
	s_delay_alu instid0(SALU_CYCLE_1)
	s_cmp_lg_u32 s0, 0
	s_barrier
	buffer_gl0_inv
	v_add_f64 v[1:2], v[1:2], v[3:4]
	s_cbranch_scc0 .LBB114_5
.LBB114_3:                              ; =>This Inner Loop Header: Depth=1
	v_mov_b32_e32 v3, 0
	v_mov_b32_e32 v4, 0x405ec000
	s_waitcnt vmcnt(0)
	ds_store_b64 v5, v[1:2] offset:2048
	s_waitcnt lgkmcnt(0)
	s_barrier
	buffer_gl0_inv
	s_and_saveexec_b32 s1, vcc_lo
	s_cbranch_execz .LBB114_2
; %bb.4:                                ;   in Loop: Header=BB114_3 Depth=1
	ds_load_b64 v[3:4], v0 offset:8
	s_branch .LBB114_2
.LBB114_5:
	s_add_u32 s0, s6, s2
	s_addc_u32 s1, s7, s3
	s_waitcnt vmcnt(0)
	global_store_b64 v5, v[1:2], s[0:1]
	s_nop 0
	s_sendmsg sendmsg(MSG_DEALLOC_VGPRS)
	s_endpgm
	.section	.rodata,"a",@progbits
	.p2align	6, 0x0
	.amdhsa_kernel _Z6kernelI14subtract_rightLj256ELj1ELb1EJPdS1_jEEvDpT3_
		.amdhsa_group_segment_fixed_size 4096
		.amdhsa_private_segment_fixed_size 0
		.amdhsa_kernarg_size 20
		.amdhsa_user_sgpr_count 15
		.amdhsa_user_sgpr_dispatch_ptr 0
		.amdhsa_user_sgpr_queue_ptr 0
		.amdhsa_user_sgpr_kernarg_segment_ptr 1
		.amdhsa_user_sgpr_dispatch_id 0
		.amdhsa_user_sgpr_private_segment_size 0
		.amdhsa_wavefront_size32 1
		.amdhsa_uses_dynamic_stack 0
		.amdhsa_enable_private_segment 0
		.amdhsa_system_sgpr_workgroup_id_x 1
		.amdhsa_system_sgpr_workgroup_id_y 0
		.amdhsa_system_sgpr_workgroup_id_z 0
		.amdhsa_system_sgpr_workgroup_info 0
		.amdhsa_system_vgpr_workitem_id 0
		.amdhsa_next_free_vgpr 6
		.amdhsa_next_free_sgpr 16
		.amdhsa_reserve_vcc 1
		.amdhsa_float_round_mode_32 0
		.amdhsa_float_round_mode_16_64 0
		.amdhsa_float_denorm_mode_32 3
		.amdhsa_float_denorm_mode_16_64 3
		.amdhsa_dx10_clamp 1
		.amdhsa_ieee_mode 1
		.amdhsa_fp16_overflow 0
		.amdhsa_workgroup_processor_mode 1
		.amdhsa_memory_ordered 1
		.amdhsa_forward_progress 0
		.amdhsa_shared_vgpr_count 0
		.amdhsa_exception_fp_ieee_invalid_op 0
		.amdhsa_exception_fp_denorm_src 0
		.amdhsa_exception_fp_ieee_div_zero 0
		.amdhsa_exception_fp_ieee_overflow 0
		.amdhsa_exception_fp_ieee_underflow 0
		.amdhsa_exception_fp_ieee_inexact 0
		.amdhsa_exception_int_div_zero 0
	.end_amdhsa_kernel
	.section	.text._Z6kernelI14subtract_rightLj256ELj1ELb1EJPdS1_jEEvDpT3_,"axG",@progbits,_Z6kernelI14subtract_rightLj256ELj1ELb1EJPdS1_jEEvDpT3_,comdat
.Lfunc_end114:
	.size	_Z6kernelI14subtract_rightLj256ELj1ELb1EJPdS1_jEEvDpT3_, .Lfunc_end114-_Z6kernelI14subtract_rightLj256ELj1ELb1EJPdS1_jEEvDpT3_
                                        ; -- End function
	.section	.AMDGPU.csdata,"",@progbits
; Kernel info:
; codeLenInByte = 224
; NumSgprs: 18
; NumVgprs: 6
; ScratchSize: 0
; MemoryBound: 0
; FloatMode: 240
; IeeeMode: 1
; LDSByteSize: 4096 bytes/workgroup (compile time only)
; SGPRBlocks: 2
; VGPRBlocks: 0
; NumSGPRsForWavesPerEU: 18
; NumVGPRsForWavesPerEU: 6
; Occupancy: 16
; WaveLimiterHint : 0
; COMPUTE_PGM_RSRC2:SCRATCH_EN: 0
; COMPUTE_PGM_RSRC2:USER_SGPR: 15
; COMPUTE_PGM_RSRC2:TRAP_HANDLER: 0
; COMPUTE_PGM_RSRC2:TGID_X_EN: 1
; COMPUTE_PGM_RSRC2:TGID_Y_EN: 0
; COMPUTE_PGM_RSRC2:TGID_Z_EN: 0
; COMPUTE_PGM_RSRC2:TIDIG_COMP_CNT: 0
	.section	.text._Z6kernelI14subtract_rightLj256ELj3ELb1EJPdS1_jEEvDpT3_,"axG",@progbits,_Z6kernelI14subtract_rightLj256ELj3ELb1EJPdS1_jEEvDpT3_,comdat
	.protected	_Z6kernelI14subtract_rightLj256ELj3ELb1EJPdS1_jEEvDpT3_ ; -- Begin function _Z6kernelI14subtract_rightLj256ELj3ELb1EJPdS1_jEEvDpT3_
	.globl	_Z6kernelI14subtract_rightLj256ELj3ELb1EJPdS1_jEEvDpT3_
	.p2align	8
	.type	_Z6kernelI14subtract_rightLj256ELj3ELb1EJPdS1_jEEvDpT3_,@function
_Z6kernelI14subtract_rightLj256ELj3ELb1EJPdS1_jEEvDpT3_: ; @_Z6kernelI14subtract_rightLj256ELj3ELb1EJPdS1_jEEvDpT3_
; %bb.0:
	s_load_b128 s[4:7], s[0:1], 0x0
	s_mov_b32 s3, 0
	s_mul_i32 s2, s15, 0x300
	v_lshlrev_b32_e32 v9, 3, v0
	s_lshl_b64 s[2:3], s[2:3], 3
	s_load_b32 s0, s[0:1], 0x10
	s_waitcnt lgkmcnt(0)
	s_add_u32 s4, s4, s2
	s_addc_u32 s5, s5, s3
	v_add_co_u32 v1, s1, s4, v9
	s_delay_alu instid0(VALU_DEP_1) | instskip(SKIP_1) | instid1(VALU_DEP_2)
	v_add_co_ci_u32_e64 v2, null, s5, 0, s1
	s_cmp_eq_u32 s0, 0
	v_add_co_u32 v1, vcc_lo, 0x1000, v1
	s_delay_alu instid0(VALU_DEP_2)
	v_add_co_ci_u32_e32 v2, vcc_lo, 0, v2, vcc_lo
	s_clause 0x2
	global_load_b64 v[5:6], v9, s[4:5]
	global_load_b64 v[3:4], v9, s[4:5] offset:2048
	global_load_b64 v[1:2], v[1:2], off
	s_cbranch_scc1 .LBB115_5
; %bb.1:
	v_cmp_ne_u32_e32 vcc_lo, 0xff, v0
	v_or_b32_e32 v0, 0x800, v9
	s_set_inst_prefetch_distance 0x1
	s_branch .LBB115_3
	.p2align	6
.LBB115_2:                              ;   in Loop: Header=BB115_3 Depth=1
	s_or_b32 exec_lo, exec_lo, s1
	v_add_f64 v[10:11], v[5:6], -v[3:4]
	v_add_f64 v[12:13], v[3:4], -v[1:2]
	s_waitcnt lgkmcnt(0)
	v_add_f64 v[7:8], v[1:2], -v[7:8]
	s_add_i32 s0, s0, -1
	s_delay_alu instid0(SALU_CYCLE_1)
	s_cmp_lg_u32 s0, 0
	s_barrier
	buffer_gl0_inv
	v_add_f64 v[5:6], v[5:6], v[10:11]
	v_add_f64 v[3:4], v[3:4], v[12:13]
	;; [unrolled: 1-line block ×3, first 2 shown]
	s_cbranch_scc0 .LBB115_5
.LBB115_3:                              ; =>This Inner Loop Header: Depth=1
	v_mov_b32_e32 v7, 0
	v_mov_b32_e32 v8, 0x405ec000
	s_waitcnt vmcnt(2)
	ds_store_b64 v9, v[5:6] offset:2048
	s_waitcnt vmcnt(0) lgkmcnt(0)
	s_barrier
	buffer_gl0_inv
	s_and_saveexec_b32 s1, vcc_lo
	s_cbranch_execz .LBB115_2
; %bb.4:                                ;   in Loop: Header=BB115_3 Depth=1
	ds_load_b64 v[7:8], v0 offset:8
	s_branch .LBB115_2
.LBB115_5:
	s_set_inst_prefetch_distance 0x2
	s_add_u32 s0, s6, s2
	s_addc_u32 s1, s7, s3
	v_add_co_u32 v0, s2, s0, v9
	s_delay_alu instid0(VALU_DEP_1) | instskip(NEXT) | instid1(VALU_DEP_2)
	v_add_co_ci_u32_e64 v8, null, s1, 0, s2
	v_add_co_u32 v7, vcc_lo, 0x1000, v0
	s_delay_alu instid0(VALU_DEP_2)
	v_add_co_ci_u32_e32 v8, vcc_lo, 0, v8, vcc_lo
	s_waitcnt vmcnt(2)
	global_store_b64 v9, v[5:6], s[0:1]
	s_waitcnt vmcnt(1)
	global_store_b64 v9, v[3:4], s[0:1] offset:2048
	s_waitcnt vmcnt(0)
	global_store_b64 v[7:8], v[1:2], off
	s_nop 0
	s_sendmsg sendmsg(MSG_DEALLOC_VGPRS)
	s_endpgm
	.section	.rodata,"a",@progbits
	.p2align	6, 0x0
	.amdhsa_kernel _Z6kernelI14subtract_rightLj256ELj3ELb1EJPdS1_jEEvDpT3_
		.amdhsa_group_segment_fixed_size 4096
		.amdhsa_private_segment_fixed_size 0
		.amdhsa_kernarg_size 20
		.amdhsa_user_sgpr_count 15
		.amdhsa_user_sgpr_dispatch_ptr 0
		.amdhsa_user_sgpr_queue_ptr 0
		.amdhsa_user_sgpr_kernarg_segment_ptr 1
		.amdhsa_user_sgpr_dispatch_id 0
		.amdhsa_user_sgpr_private_segment_size 0
		.amdhsa_wavefront_size32 1
		.amdhsa_uses_dynamic_stack 0
		.amdhsa_enable_private_segment 0
		.amdhsa_system_sgpr_workgroup_id_x 1
		.amdhsa_system_sgpr_workgroup_id_y 0
		.amdhsa_system_sgpr_workgroup_id_z 0
		.amdhsa_system_sgpr_workgroup_info 0
		.amdhsa_system_vgpr_workitem_id 0
		.amdhsa_next_free_vgpr 14
		.amdhsa_next_free_sgpr 16
		.amdhsa_reserve_vcc 1
		.amdhsa_float_round_mode_32 0
		.amdhsa_float_round_mode_16_64 0
		.amdhsa_float_denorm_mode_32 3
		.amdhsa_float_denorm_mode_16_64 3
		.amdhsa_dx10_clamp 1
		.amdhsa_ieee_mode 1
		.amdhsa_fp16_overflow 0
		.amdhsa_workgroup_processor_mode 1
		.amdhsa_memory_ordered 1
		.amdhsa_forward_progress 0
		.amdhsa_shared_vgpr_count 0
		.amdhsa_exception_fp_ieee_invalid_op 0
		.amdhsa_exception_fp_denorm_src 0
		.amdhsa_exception_fp_ieee_div_zero 0
		.amdhsa_exception_fp_ieee_overflow 0
		.amdhsa_exception_fp_ieee_underflow 0
		.amdhsa_exception_fp_ieee_inexact 0
		.amdhsa_exception_int_div_zero 0
	.end_amdhsa_kernel
	.section	.text._Z6kernelI14subtract_rightLj256ELj3ELb1EJPdS1_jEEvDpT3_,"axG",@progbits,_Z6kernelI14subtract_rightLj256ELj3ELb1EJPdS1_jEEvDpT3_,comdat
.Lfunc_end115:
	.size	_Z6kernelI14subtract_rightLj256ELj3ELb1EJPdS1_jEEvDpT3_, .Lfunc_end115-_Z6kernelI14subtract_rightLj256ELj3ELb1EJPdS1_jEEvDpT3_
                                        ; -- End function
	.section	.AMDGPU.csdata,"",@progbits
; Kernel info:
; codeLenInByte = 392
; NumSgprs: 18
; NumVgprs: 14
; ScratchSize: 0
; MemoryBound: 0
; FloatMode: 240
; IeeeMode: 1
; LDSByteSize: 4096 bytes/workgroup (compile time only)
; SGPRBlocks: 2
; VGPRBlocks: 1
; NumSGPRsForWavesPerEU: 18
; NumVGPRsForWavesPerEU: 14
; Occupancy: 16
; WaveLimiterHint : 1
; COMPUTE_PGM_RSRC2:SCRATCH_EN: 0
; COMPUTE_PGM_RSRC2:USER_SGPR: 15
; COMPUTE_PGM_RSRC2:TRAP_HANDLER: 0
; COMPUTE_PGM_RSRC2:TGID_X_EN: 1
; COMPUTE_PGM_RSRC2:TGID_Y_EN: 0
; COMPUTE_PGM_RSRC2:TGID_Z_EN: 0
; COMPUTE_PGM_RSRC2:TIDIG_COMP_CNT: 0
	.section	.text._Z6kernelI14subtract_rightLj256ELj4ELb1EJPdS1_jEEvDpT3_,"axG",@progbits,_Z6kernelI14subtract_rightLj256ELj4ELb1EJPdS1_jEEvDpT3_,comdat
	.protected	_Z6kernelI14subtract_rightLj256ELj4ELb1EJPdS1_jEEvDpT3_ ; -- Begin function _Z6kernelI14subtract_rightLj256ELj4ELb1EJPdS1_jEEvDpT3_
	.globl	_Z6kernelI14subtract_rightLj256ELj4ELb1EJPdS1_jEEvDpT3_
	.p2align	8
	.type	_Z6kernelI14subtract_rightLj256ELj4ELb1EJPdS1_jEEvDpT3_,@function
_Z6kernelI14subtract_rightLj256ELj4ELb1EJPdS1_jEEvDpT3_: ; @_Z6kernelI14subtract_rightLj256ELj4ELb1EJPdS1_jEEvDpT3_
; %bb.0:
	s_load_b128 s[4:7], s[0:1], 0x0
	s_mov_b32 s3, 0
	s_lshl_b32 s2, s15, 10
	v_lshlrev_b32_e32 v11, 3, v0
	s_lshl_b64 s[2:3], s[2:3], 3
	s_load_b32 s0, s[0:1], 0x10
	s_waitcnt lgkmcnt(0)
	s_add_u32 s4, s4, s2
	s_addc_u32 s5, s5, s3
	v_add_co_u32 v1, s1, s4, v11
	s_delay_alu instid0(VALU_DEP_1) | instskip(SKIP_1) | instid1(VALU_DEP_2)
	v_add_co_ci_u32_e64 v2, null, s5, 0, s1
	s_cmp_eq_u32 s0, 0
	v_add_co_u32 v1, vcc_lo, 0x1000, v1
	s_delay_alu instid0(VALU_DEP_2)
	v_add_co_ci_u32_e32 v2, vcc_lo, 0, v2, vcc_lo
	s_clause 0x3
	global_load_b64 v[7:8], v11, s[4:5]
	global_load_b64 v[5:6], v11, s[4:5] offset:2048
	global_load_b64 v[3:4], v[1:2], off
	global_load_b64 v[1:2], v[1:2], off offset:2048
	s_cbranch_scc1 .LBB116_5
; %bb.1:
	v_cmp_ne_u32_e32 vcc_lo, 0xff, v0
	v_or_b32_e32 v0, 0x800, v11
	s_set_inst_prefetch_distance 0x1
	s_branch .LBB116_3
	.p2align	6
.LBB116_2:                              ;   in Loop: Header=BB116_3 Depth=1
	s_or_b32 exec_lo, exec_lo, s1
	v_add_f64 v[12:13], v[7:8], -v[5:6]
	v_add_f64 v[14:15], v[5:6], -v[3:4]
	;; [unrolled: 1-line block ×3, first 2 shown]
	s_waitcnt lgkmcnt(0)
	v_add_f64 v[9:10], v[1:2], -v[9:10]
	s_add_i32 s0, s0, -1
	s_delay_alu instid0(SALU_CYCLE_1)
	s_cmp_lg_u32 s0, 0
	s_barrier
	buffer_gl0_inv
	v_add_f64 v[7:8], v[7:8], v[12:13]
	v_add_f64 v[5:6], v[5:6], v[14:15]
	;; [unrolled: 1-line block ×4, first 2 shown]
	s_cbranch_scc0 .LBB116_5
.LBB116_3:                              ; =>This Inner Loop Header: Depth=1
	v_mov_b32_e32 v9, 0
	v_mov_b32_e32 v10, 0x405ec000
	s_waitcnt vmcnt(3)
	ds_store_b64 v11, v[7:8] offset:2048
	s_waitcnt vmcnt(0) lgkmcnt(0)
	s_barrier
	buffer_gl0_inv
	s_and_saveexec_b32 s1, vcc_lo
	s_cbranch_execz .LBB116_2
; %bb.4:                                ;   in Loop: Header=BB116_3 Depth=1
	ds_load_b64 v[9:10], v0 offset:8
	s_branch .LBB116_2
.LBB116_5:
	s_set_inst_prefetch_distance 0x2
	s_add_u32 s0, s6, s2
	s_addc_u32 s1, s7, s3
	v_add_co_u32 v0, s2, s0, v11
	s_delay_alu instid0(VALU_DEP_1) | instskip(NEXT) | instid1(VALU_DEP_2)
	v_add_co_ci_u32_e64 v10, null, s1, 0, s2
	v_add_co_u32 v9, vcc_lo, 0x1000, v0
	s_delay_alu instid0(VALU_DEP_2)
	v_add_co_ci_u32_e32 v10, vcc_lo, 0, v10, vcc_lo
	s_waitcnt vmcnt(3)
	global_store_b64 v11, v[7:8], s[0:1]
	s_waitcnt vmcnt(2)
	global_store_b64 v11, v[5:6], s[0:1] offset:2048
	s_waitcnt vmcnt(1)
	global_store_b64 v[9:10], v[3:4], off
	s_waitcnt vmcnt(0)
	global_store_b64 v[9:10], v[1:2], off offset:2048
	s_nop 0
	s_sendmsg sendmsg(MSG_DEALLOC_VGPRS)
	s_endpgm
	.section	.rodata,"a",@progbits
	.p2align	6, 0x0
	.amdhsa_kernel _Z6kernelI14subtract_rightLj256ELj4ELb1EJPdS1_jEEvDpT3_
		.amdhsa_group_segment_fixed_size 4096
		.amdhsa_private_segment_fixed_size 0
		.amdhsa_kernarg_size 20
		.amdhsa_user_sgpr_count 15
		.amdhsa_user_sgpr_dispatch_ptr 0
		.amdhsa_user_sgpr_queue_ptr 0
		.amdhsa_user_sgpr_kernarg_segment_ptr 1
		.amdhsa_user_sgpr_dispatch_id 0
		.amdhsa_user_sgpr_private_segment_size 0
		.amdhsa_wavefront_size32 1
		.amdhsa_uses_dynamic_stack 0
		.amdhsa_enable_private_segment 0
		.amdhsa_system_sgpr_workgroup_id_x 1
		.amdhsa_system_sgpr_workgroup_id_y 0
		.amdhsa_system_sgpr_workgroup_id_z 0
		.amdhsa_system_sgpr_workgroup_info 0
		.amdhsa_system_vgpr_workitem_id 0
		.amdhsa_next_free_vgpr 18
		.amdhsa_next_free_sgpr 16
		.amdhsa_reserve_vcc 1
		.amdhsa_float_round_mode_32 0
		.amdhsa_float_round_mode_16_64 0
		.amdhsa_float_denorm_mode_32 3
		.amdhsa_float_denorm_mode_16_64 3
		.amdhsa_dx10_clamp 1
		.amdhsa_ieee_mode 1
		.amdhsa_fp16_overflow 0
		.amdhsa_workgroup_processor_mode 1
		.amdhsa_memory_ordered 1
		.amdhsa_forward_progress 0
		.amdhsa_shared_vgpr_count 0
		.amdhsa_exception_fp_ieee_invalid_op 0
		.amdhsa_exception_fp_denorm_src 0
		.amdhsa_exception_fp_ieee_div_zero 0
		.amdhsa_exception_fp_ieee_overflow 0
		.amdhsa_exception_fp_ieee_underflow 0
		.amdhsa_exception_fp_ieee_inexact 0
		.amdhsa_exception_int_div_zero 0
	.end_amdhsa_kernel
	.section	.text._Z6kernelI14subtract_rightLj256ELj4ELb1EJPdS1_jEEvDpT3_,"axG",@progbits,_Z6kernelI14subtract_rightLj256ELj4ELb1EJPdS1_jEEvDpT3_,comdat
.Lfunc_end116:
	.size	_Z6kernelI14subtract_rightLj256ELj4ELb1EJPdS1_jEEvDpT3_, .Lfunc_end116-_Z6kernelI14subtract_rightLj256ELj4ELb1EJPdS1_jEEvDpT3_
                                        ; -- End function
	.section	.AMDGPU.csdata,"",@progbits
; Kernel info:
; codeLenInByte = 424
; NumSgprs: 18
; NumVgprs: 18
; ScratchSize: 0
; MemoryBound: 0
; FloatMode: 240
; IeeeMode: 1
; LDSByteSize: 4096 bytes/workgroup (compile time only)
; SGPRBlocks: 2
; VGPRBlocks: 2
; NumSGPRsForWavesPerEU: 18
; NumVGPRsForWavesPerEU: 18
; Occupancy: 16
; WaveLimiterHint : 1
; COMPUTE_PGM_RSRC2:SCRATCH_EN: 0
; COMPUTE_PGM_RSRC2:USER_SGPR: 15
; COMPUTE_PGM_RSRC2:TRAP_HANDLER: 0
; COMPUTE_PGM_RSRC2:TGID_X_EN: 1
; COMPUTE_PGM_RSRC2:TGID_Y_EN: 0
; COMPUTE_PGM_RSRC2:TGID_Z_EN: 0
; COMPUTE_PGM_RSRC2:TIDIG_COMP_CNT: 0
	.section	.text._Z6kernelI14subtract_rightLj256ELj8ELb1EJPdS1_jEEvDpT3_,"axG",@progbits,_Z6kernelI14subtract_rightLj256ELj8ELb1EJPdS1_jEEvDpT3_,comdat
	.protected	_Z6kernelI14subtract_rightLj256ELj8ELb1EJPdS1_jEEvDpT3_ ; -- Begin function _Z6kernelI14subtract_rightLj256ELj8ELb1EJPdS1_jEEvDpT3_
	.globl	_Z6kernelI14subtract_rightLj256ELj8ELb1EJPdS1_jEEvDpT3_
	.p2align	8
	.type	_Z6kernelI14subtract_rightLj256ELj8ELb1EJPdS1_jEEvDpT3_,@function
_Z6kernelI14subtract_rightLj256ELj8ELb1EJPdS1_jEEvDpT3_: ; @_Z6kernelI14subtract_rightLj256ELj8ELb1EJPdS1_jEEvDpT3_
; %bb.0:
	s_load_b128 s[4:7], s[0:1], 0x0
	s_mov_b32 s3, 0
	s_lshl_b32 s2, s15, 11
	v_lshlrev_b32_e32 v19, 3, v0
	s_lshl_b64 s[2:3], s[2:3], 3
	s_load_b32 s0, s[0:1], 0x10
	s_waitcnt lgkmcnt(0)
	s_add_u32 s4, s4, s2
	s_addc_u32 s5, s5, s3
	v_add_co_u32 v5, s1, s4, v19
	s_delay_alu instid0(VALU_DEP_1) | instskip(SKIP_1) | instid1(VALU_DEP_2)
	v_add_co_ci_u32_e64 v6, null, s5, 0, s1
	s_cmp_eq_u32 s0, 0
	v_add_co_u32 v1, vcc_lo, 0x1000, v5
	s_delay_alu instid0(VALU_DEP_2)
	v_add_co_ci_u32_e32 v2, vcc_lo, 0, v6, vcc_lo
	v_add_co_u32 v9, vcc_lo, v5, 0x2000
	v_add_co_ci_u32_e32 v10, vcc_lo, 0, v6, vcc_lo
	v_add_co_u32 v3, vcc_lo, 0x2000, v5
	;; [unrolled: 2-line block ×3, first 2 shown]
	v_add_co_ci_u32_e32 v18, vcc_lo, 0, v6, vcc_lo
	s_clause 0x7
	global_load_b64 v[15:16], v[9:10], off
	global_load_b64 v[13:14], v19, s[4:5]
	global_load_b64 v[11:12], v19, s[4:5] offset:2048
	global_load_b64 v[7:8], v[1:2], off offset:2048
	global_load_b64 v[5:6], v[3:4], off offset:2048
	global_load_b64 v[3:4], v[17:18], off
	global_load_b64 v[9:10], v[9:10], off offset:-4096
	global_load_b64 v[1:2], v[17:18], off offset:2048
	s_cbranch_scc1 .LBB117_5
; %bb.1:
	v_cmp_ne_u32_e32 vcc_lo, 0xff, v0
	v_or_b32_e32 v0, 0x800, v19
	s_set_inst_prefetch_distance 0x1
	s_branch .LBB117_3
	.p2align	6
.LBB117_2:                              ;   in Loop: Header=BB117_3 Depth=1
	s_or_b32 exec_lo, exec_lo, s1
	v_add_f64 v[20:21], v[13:14], -v[11:12]
	v_add_f64 v[22:23], v[11:12], -v[9:10]
	;; [unrolled: 1-line block ×7, first 2 shown]
	s_waitcnt lgkmcnt(0)
	v_add_f64 v[17:18], v[1:2], -v[17:18]
	s_add_i32 s0, s0, -1
	s_delay_alu instid0(SALU_CYCLE_1)
	s_cmp_lg_u32 s0, 0
	s_barrier
	buffer_gl0_inv
	v_add_f64 v[13:14], v[13:14], v[20:21]
	v_add_f64 v[11:12], v[11:12], v[22:23]
	;; [unrolled: 1-line block ×8, first 2 shown]
	s_cbranch_scc0 .LBB117_5
.LBB117_3:                              ; =>This Inner Loop Header: Depth=1
	v_mov_b32_e32 v17, 0
	v_mov_b32_e32 v18, 0x405ec000
	s_waitcnt vmcnt(6)
	ds_store_b64 v19, v[13:14] offset:2048
	s_waitcnt vmcnt(0) lgkmcnt(0)
	s_barrier
	buffer_gl0_inv
	s_and_saveexec_b32 s1, vcc_lo
	s_cbranch_execz .LBB117_2
; %bb.4:                                ;   in Loop: Header=BB117_3 Depth=1
	ds_load_b64 v[17:18], v0 offset:8
	s_branch .LBB117_2
.LBB117_5:
	s_set_inst_prefetch_distance 0x2
	s_add_u32 s0, s6, s2
	s_addc_u32 s1, s7, s3
	v_add_co_u32 v0, s2, s0, v19
	s_delay_alu instid0(VALU_DEP_1) | instskip(NEXT) | instid1(VALU_DEP_2)
	v_add_co_ci_u32_e64 v24, null, s1, 0, s2
	v_add_co_u32 v17, vcc_lo, 0x1000, v0
	s_delay_alu instid0(VALU_DEP_2)
	v_add_co_ci_u32_e32 v18, vcc_lo, 0, v24, vcc_lo
	v_add_co_u32 v20, vcc_lo, v0, 0x2000
	v_add_co_ci_u32_e32 v21, vcc_lo, 0, v24, vcc_lo
	v_add_co_u32 v22, vcc_lo, 0x2000, v0
	v_add_co_ci_u32_e32 v23, vcc_lo, 0, v24, vcc_lo
	s_waitcnt vmcnt(7)
	global_store_b64 v[20:21], v[15:16], off
	v_add_co_u32 v15, vcc_lo, 0x3000, v0
	v_add_co_ci_u32_e32 v16, vcc_lo, 0, v24, vcc_lo
	s_waitcnt vmcnt(6)
	global_store_b64 v19, v[13:14], s[0:1]
	s_waitcnt vmcnt(5)
	global_store_b64 v19, v[11:12], s[0:1] offset:2048
	s_waitcnt vmcnt(4)
	global_store_b64 v[17:18], v[7:8], off offset:2048
	s_waitcnt vmcnt(3)
	global_store_b64 v[22:23], v[5:6], off offset:2048
	s_waitcnt vmcnt(2)
	global_store_b64 v[15:16], v[3:4], off
	s_waitcnt vmcnt(1)
	global_store_b64 v[20:21], v[9:10], off offset:-4096
	s_waitcnt vmcnt(0)
	global_store_b64 v[15:16], v[1:2], off offset:2048
	s_nop 0
	s_sendmsg sendmsg(MSG_DEALLOC_VGPRS)
	s_endpgm
	.section	.rodata,"a",@progbits
	.p2align	6, 0x0
	.amdhsa_kernel _Z6kernelI14subtract_rightLj256ELj8ELb1EJPdS1_jEEvDpT3_
		.amdhsa_group_segment_fixed_size 4096
		.amdhsa_private_segment_fixed_size 0
		.amdhsa_kernarg_size 20
		.amdhsa_user_sgpr_count 15
		.amdhsa_user_sgpr_dispatch_ptr 0
		.amdhsa_user_sgpr_queue_ptr 0
		.amdhsa_user_sgpr_kernarg_segment_ptr 1
		.amdhsa_user_sgpr_dispatch_id 0
		.amdhsa_user_sgpr_private_segment_size 0
		.amdhsa_wavefront_size32 1
		.amdhsa_uses_dynamic_stack 0
		.amdhsa_enable_private_segment 0
		.amdhsa_system_sgpr_workgroup_id_x 1
		.amdhsa_system_sgpr_workgroup_id_y 0
		.amdhsa_system_sgpr_workgroup_id_z 0
		.amdhsa_system_sgpr_workgroup_info 0
		.amdhsa_system_vgpr_workitem_id 0
		.amdhsa_next_free_vgpr 34
		.amdhsa_next_free_sgpr 16
		.amdhsa_reserve_vcc 1
		.amdhsa_float_round_mode_32 0
		.amdhsa_float_round_mode_16_64 0
		.amdhsa_float_denorm_mode_32 3
		.amdhsa_float_denorm_mode_16_64 3
		.amdhsa_dx10_clamp 1
		.amdhsa_ieee_mode 1
		.amdhsa_fp16_overflow 0
		.amdhsa_workgroup_processor_mode 1
		.amdhsa_memory_ordered 1
		.amdhsa_forward_progress 0
		.amdhsa_shared_vgpr_count 0
		.amdhsa_exception_fp_ieee_invalid_op 0
		.amdhsa_exception_fp_denorm_src 0
		.amdhsa_exception_fp_ieee_div_zero 0
		.amdhsa_exception_fp_ieee_overflow 0
		.amdhsa_exception_fp_ieee_underflow 0
		.amdhsa_exception_fp_ieee_inexact 0
		.amdhsa_exception_int_div_zero 0
	.end_amdhsa_kernel
	.section	.text._Z6kernelI14subtract_rightLj256ELj8ELb1EJPdS1_jEEvDpT3_,"axG",@progbits,_Z6kernelI14subtract_rightLj256ELj8ELb1EJPdS1_jEEvDpT3_,comdat
.Lfunc_end117:
	.size	_Z6kernelI14subtract_rightLj256ELj8ELb1EJPdS1_jEEvDpT3_, .Lfunc_end117-_Z6kernelI14subtract_rightLj256ELj8ELb1EJPdS1_jEEvDpT3_
                                        ; -- End function
	.section	.AMDGPU.csdata,"",@progbits
; Kernel info:
; codeLenInByte = 664
; NumSgprs: 18
; NumVgprs: 34
; ScratchSize: 0
; MemoryBound: 0
; FloatMode: 240
; IeeeMode: 1
; LDSByteSize: 4096 bytes/workgroup (compile time only)
; SGPRBlocks: 2
; VGPRBlocks: 4
; NumSGPRsForWavesPerEU: 18
; NumVGPRsForWavesPerEU: 34
; Occupancy: 16
; WaveLimiterHint : 1
; COMPUTE_PGM_RSRC2:SCRATCH_EN: 0
; COMPUTE_PGM_RSRC2:USER_SGPR: 15
; COMPUTE_PGM_RSRC2:TRAP_HANDLER: 0
; COMPUTE_PGM_RSRC2:TGID_X_EN: 1
; COMPUTE_PGM_RSRC2:TGID_Y_EN: 0
; COMPUTE_PGM_RSRC2:TGID_Z_EN: 0
; COMPUTE_PGM_RSRC2:TIDIG_COMP_CNT: 0
	.section	.text._Z6kernelI14subtract_rightLj256ELj16ELb1EJPdS1_jEEvDpT3_,"axG",@progbits,_Z6kernelI14subtract_rightLj256ELj16ELb1EJPdS1_jEEvDpT3_,comdat
	.protected	_Z6kernelI14subtract_rightLj256ELj16ELb1EJPdS1_jEEvDpT3_ ; -- Begin function _Z6kernelI14subtract_rightLj256ELj16ELb1EJPdS1_jEEvDpT3_
	.globl	_Z6kernelI14subtract_rightLj256ELj16ELb1EJPdS1_jEEvDpT3_
	.p2align	8
	.type	_Z6kernelI14subtract_rightLj256ELj16ELb1EJPdS1_jEEvDpT3_,@function
_Z6kernelI14subtract_rightLj256ELj16ELb1EJPdS1_jEEvDpT3_: ; @_Z6kernelI14subtract_rightLj256ELj16ELb1EJPdS1_jEEvDpT3_
; %bb.0:
	s_load_b128 s[4:7], s[0:1], 0x0
	s_mov_b32 s3, 0
	s_lshl_b32 s2, s15, 12
	v_lshlrev_b32_e32 v35, 3, v0
	s_lshl_b64 s[2:3], s[2:3], 3
	s_load_b32 s0, s[0:1], 0x10
	s_waitcnt lgkmcnt(0)
	s_add_u32 s4, s4, s2
	s_addc_u32 s5, s5, s3
	v_add_co_u32 v13, s1, s4, v35
	s_delay_alu instid0(VALU_DEP_1) | instskip(SKIP_1) | instid1(VALU_DEP_2)
	v_add_co_ci_u32_e64 v14, null, s5, 0, s1
	s_cmp_eq_u32 s0, 0
	v_add_co_u32 v1, vcc_lo, 0x1000, v13
	s_delay_alu instid0(VALU_DEP_2)
	v_add_co_ci_u32_e32 v2, vcc_lo, 0, v14, vcc_lo
	v_add_co_u32 v21, vcc_lo, v13, 0x2000
	v_add_co_ci_u32_e32 v22, vcc_lo, 0, v14, vcc_lo
	v_add_co_u32 v3, vcc_lo, 0x2000, v13
	;; [unrolled: 2-line block ×3, first 2 shown]
	v_add_co_ci_u32_e32 v6, vcc_lo, 0, v14, vcc_lo
	s_clause 0x4
	global_load_b64 v[25:26], v[21:22], off
	global_load_b64 v[31:32], v35, s[4:5]
	global_load_b64 v[29:30], v35, s[4:5] offset:2048
	global_load_b64 v[27:28], v[1:2], off offset:2048
	global_load_b64 v[23:24], v[3:4], off offset:2048
	v_add_co_u32 v1, vcc_lo, v13, 0x4000
	v_add_co_ci_u32_e32 v2, vcc_lo, 0, v14, vcc_lo
	v_add_co_u32 v3, vcc_lo, 0x4000, v13
	v_add_co_ci_u32_e32 v4, vcc_lo, 0, v14, vcc_lo
	v_add_co_u32 v9, vcc_lo, 0x5000, v13
	v_add_co_ci_u32_e32 v10, vcc_lo, 0, v14, vcc_lo
	v_add_co_u32 v7, vcc_lo, v13, 0x6000
	v_add_co_ci_u32_e32 v8, vcc_lo, 0, v14, vcc_lo
	v_add_co_u32 v33, vcc_lo, 0x6000, v13
	v_add_co_ci_u32_e32 v34, vcc_lo, 0, v14, vcc_lo
	s_clause 0x3
	global_load_b64 v[19:20], v[1:2], off offset:-4096
	global_load_b64 v[15:16], v[1:2], off
	global_load_b64 v[11:12], v[7:8], off offset:-4096
	global_load_b64 v[7:8], v[7:8], off
	v_add_co_u32 v1, vcc_lo, 0x7000, v13
	v_add_co_ci_u32_e32 v2, vcc_lo, 0, v14, vcc_lo
	s_clause 0x6
	global_load_b64 v[17:18], v[5:6], off offset:2048
	global_load_b64 v[13:14], v[3:4], off offset:2048
	;; [unrolled: 1-line block ×4, first 2 shown]
	global_load_b64 v[3:4], v[1:2], off
	global_load_b64 v[21:22], v[21:22], off offset:-4096
	global_load_b64 v[1:2], v[1:2], off offset:2048
	s_cbranch_scc1 .LBB118_5
; %bb.1:
	v_cmp_ne_u32_e32 vcc_lo, 0xff, v0
	v_or_b32_e32 v0, 0x800, v35
	s_branch .LBB118_3
.LBB118_2:                              ;   in Loop: Header=BB118_3 Depth=1
	s_or_b32 exec_lo, exec_lo, s1
	v_add_f64 v[36:37], v[31:32], -v[29:30]
	v_add_f64 v[38:39], v[29:30], -v[21:22]
	;; [unrolled: 1-line block ×15, first 2 shown]
	s_waitcnt lgkmcnt(0)
	v_add_f64 v[33:34], v[1:2], -v[33:34]
	s_add_i32 s0, s0, -1
	s_delay_alu instid0(SALU_CYCLE_1)
	s_cmp_lg_u32 s0, 0
	s_barrier
	buffer_gl0_inv
	v_add_f64 v[31:32], v[31:32], v[36:37]
	v_add_f64 v[29:30], v[29:30], v[38:39]
	;; [unrolled: 1-line block ×16, first 2 shown]
	s_cbranch_scc0 .LBB118_5
.LBB118_3:                              ; =>This Inner Loop Header: Depth=1
	v_mov_b32_e32 v33, 0
	v_mov_b32_e32 v34, 0x405ec000
	s_waitcnt vmcnt(14)
	ds_store_b64 v35, v[31:32] offset:2048
	s_waitcnt vmcnt(0) lgkmcnt(0)
	s_barrier
	buffer_gl0_inv
	s_and_saveexec_b32 s1, vcc_lo
	s_cbranch_execz .LBB118_2
; %bb.4:                                ;   in Loop: Header=BB118_3 Depth=1
	ds_load_b64 v[33:34], v0 offset:8
	s_branch .LBB118_2
.LBB118_5:
	s_add_u32 s0, s6, s2
	s_addc_u32 s1, s7, s3
	v_add_co_u32 v0, s2, s0, v35
	s_delay_alu instid0(VALU_DEP_1) | instskip(NEXT) | instid1(VALU_DEP_2)
	v_add_co_ci_u32_e64 v40, null, s1, 0, s2
	v_add_co_u32 v33, vcc_lo, 0x1000, v0
	s_delay_alu instid0(VALU_DEP_2)
	v_add_co_ci_u32_e32 v34, vcc_lo, 0, v40, vcc_lo
	v_add_co_u32 v36, vcc_lo, v0, 0x2000
	v_add_co_ci_u32_e32 v37, vcc_lo, 0, v40, vcc_lo
	v_add_co_u32 v38, vcc_lo, 0x2000, v0
	v_add_co_ci_u32_e32 v39, vcc_lo, 0, v40, vcc_lo
	s_waitcnt vmcnt(15)
	global_store_b64 v[36:37], v[25:26], off
	s_waitcnt vmcnt(14)
	global_store_b64 v35, v[31:32], s[0:1]
	s_waitcnt vmcnt(13)
	global_store_b64 v35, v[29:30], s[0:1] offset:2048
	s_waitcnt vmcnt(12)
	global_store_b64 v[33:34], v[27:28], off offset:2048
	s_waitcnt vmcnt(11)
	global_store_b64 v[38:39], v[23:24], off offset:2048
	v_add_co_u32 v23, vcc_lo, 0x3000, v0
	v_add_co_ci_u32_e32 v24, vcc_lo, 0, v40, vcc_lo
	v_add_co_u32 v25, vcc_lo, v0, 0x4000
	v_add_co_ci_u32_e32 v26, vcc_lo, 0, v40, vcc_lo
	;; [unrolled: 2-line block ×6, first 2 shown]
	s_waitcnt vmcnt(10)
	global_store_b64 v[25:26], v[19:20], off offset:-4096
	s_waitcnt vmcnt(9)
	global_store_b64 v[25:26], v[15:16], off
	s_waitcnt vmcnt(8)
	global_store_b64 v[31:32], v[11:12], off offset:-4096
	s_waitcnt vmcnt(7)
	global_store_b64 v[31:32], v[7:8], off
	v_add_co_u32 v7, vcc_lo, 0x7000, v0
	v_add_co_ci_u32_e32 v8, vcc_lo, 0, v40, vcc_lo
	s_waitcnt vmcnt(6)
	global_store_b64 v[23:24], v[17:18], off offset:2048
	s_waitcnt vmcnt(5)
	global_store_b64 v[27:28], v[13:14], off offset:2048
	;; [unrolled: 2-line block ×4, first 2 shown]
	s_waitcnt vmcnt(2)
	global_store_b64 v[7:8], v[3:4], off
	s_waitcnt vmcnt(1)
	global_store_b64 v[36:37], v[21:22], off offset:-4096
	s_waitcnt vmcnt(0)
	global_store_b64 v[7:8], v[1:2], off offset:2048
	s_nop 0
	s_sendmsg sendmsg(MSG_DEALLOC_VGPRS)
	s_endpgm
	.section	.rodata,"a",@progbits
	.p2align	6, 0x0
	.amdhsa_kernel _Z6kernelI14subtract_rightLj256ELj16ELb1EJPdS1_jEEvDpT3_
		.amdhsa_group_segment_fixed_size 4096
		.amdhsa_private_segment_fixed_size 0
		.amdhsa_kernarg_size 20
		.amdhsa_user_sgpr_count 15
		.amdhsa_user_sgpr_dispatch_ptr 0
		.amdhsa_user_sgpr_queue_ptr 0
		.amdhsa_user_sgpr_kernarg_segment_ptr 1
		.amdhsa_user_sgpr_dispatch_id 0
		.amdhsa_user_sgpr_private_segment_size 0
		.amdhsa_wavefront_size32 1
		.amdhsa_uses_dynamic_stack 0
		.amdhsa_enable_private_segment 0
		.amdhsa_system_sgpr_workgroup_id_x 1
		.amdhsa_system_sgpr_workgroup_id_y 0
		.amdhsa_system_sgpr_workgroup_id_z 0
		.amdhsa_system_sgpr_workgroup_info 0
		.amdhsa_system_vgpr_workitem_id 0
		.amdhsa_next_free_vgpr 66
		.amdhsa_next_free_sgpr 16
		.amdhsa_reserve_vcc 1
		.amdhsa_float_round_mode_32 0
		.amdhsa_float_round_mode_16_64 0
		.amdhsa_float_denorm_mode_32 3
		.amdhsa_float_denorm_mode_16_64 3
		.amdhsa_dx10_clamp 1
		.amdhsa_ieee_mode 1
		.amdhsa_fp16_overflow 0
		.amdhsa_workgroup_processor_mode 1
		.amdhsa_memory_ordered 1
		.amdhsa_forward_progress 0
		.amdhsa_shared_vgpr_count 0
		.amdhsa_exception_fp_ieee_invalid_op 0
		.amdhsa_exception_fp_denorm_src 0
		.amdhsa_exception_fp_ieee_div_zero 0
		.amdhsa_exception_fp_ieee_overflow 0
		.amdhsa_exception_fp_ieee_underflow 0
		.amdhsa_exception_fp_ieee_inexact 0
		.amdhsa_exception_int_div_zero 0
	.end_amdhsa_kernel
	.section	.text._Z6kernelI14subtract_rightLj256ELj16ELb1EJPdS1_jEEvDpT3_,"axG",@progbits,_Z6kernelI14subtract_rightLj256ELj16ELb1EJPdS1_jEEvDpT3_,comdat
.Lfunc_end118:
	.size	_Z6kernelI14subtract_rightLj256ELj16ELb1EJPdS1_jEEvDpT3_, .Lfunc_end118-_Z6kernelI14subtract_rightLj256ELj16ELb1EJPdS1_jEEvDpT3_
                                        ; -- End function
	.section	.AMDGPU.csdata,"",@progbits
; Kernel info:
; codeLenInByte = 1144
; NumSgprs: 18
; NumVgprs: 66
; ScratchSize: 0
; MemoryBound: 0
; FloatMode: 240
; IeeeMode: 1
; LDSByteSize: 4096 bytes/workgroup (compile time only)
; SGPRBlocks: 2
; VGPRBlocks: 8
; NumSGPRsForWavesPerEU: 18
; NumVGPRsForWavesPerEU: 66
; Occupancy: 16
; WaveLimiterHint : 1
; COMPUTE_PGM_RSRC2:SCRATCH_EN: 0
; COMPUTE_PGM_RSRC2:USER_SGPR: 15
; COMPUTE_PGM_RSRC2:TRAP_HANDLER: 0
; COMPUTE_PGM_RSRC2:TGID_X_EN: 1
; COMPUTE_PGM_RSRC2:TGID_Y_EN: 0
; COMPUTE_PGM_RSRC2:TGID_Z_EN: 0
; COMPUTE_PGM_RSRC2:TIDIG_COMP_CNT: 0
	.section	.text._Z6kernelI14subtract_rightLj256ELj32ELb1EJPdS1_jEEvDpT3_,"axG",@progbits,_Z6kernelI14subtract_rightLj256ELj32ELb1EJPdS1_jEEvDpT3_,comdat
	.protected	_Z6kernelI14subtract_rightLj256ELj32ELb1EJPdS1_jEEvDpT3_ ; -- Begin function _Z6kernelI14subtract_rightLj256ELj32ELb1EJPdS1_jEEvDpT3_
	.globl	_Z6kernelI14subtract_rightLj256ELj32ELb1EJPdS1_jEEvDpT3_
	.p2align	8
	.type	_Z6kernelI14subtract_rightLj256ELj32ELb1EJPdS1_jEEvDpT3_,@function
_Z6kernelI14subtract_rightLj256ELj32ELb1EJPdS1_jEEvDpT3_: ; @_Z6kernelI14subtract_rightLj256ELj32ELb1EJPdS1_jEEvDpT3_
; %bb.0:
	s_load_b128 s[4:7], s[0:1], 0x0
	s_mov_b32 s3, 0
	s_lshl_b32 s2, s15, 13
	v_lshlrev_b32_e32 v67, 3, v0
	s_lshl_b64 s[2:3], s[2:3], 3
	s_load_b32 s0, s[0:1], 0x10
	s_waitcnt lgkmcnt(0)
	s_add_u32 s4, s4, s2
	s_addc_u32 s5, s5, s3
	v_add_co_u32 v13, s1, s4, v67
	s_delay_alu instid0(VALU_DEP_1) | instskip(SKIP_1) | instid1(VALU_DEP_2)
	v_add_co_ci_u32_e64 v14, null, s5, 0, s1
	s_cmp_eq_u32 s0, 0
	v_add_co_u32 v1, vcc_lo, 0x1000, v13
	s_delay_alu instid0(VALU_DEP_2)
	v_add_co_ci_u32_e32 v2, vcc_lo, 0, v14, vcc_lo
	v_add_co_u32 v53, vcc_lo, v13, 0x2000
	v_add_co_ci_u32_e32 v54, vcc_lo, 0, v14, vcc_lo
	v_add_co_u32 v3, vcc_lo, 0x2000, v13
	;; [unrolled: 2-line block ×3, first 2 shown]
	v_add_co_ci_u32_e32 v6, vcc_lo, 0, v14, vcc_lo
	s_clause 0x4
	global_load_b64 v[57:58], v[53:54], off
	global_load_b64 v[63:64], v67, s[4:5]
	global_load_b64 v[61:62], v67, s[4:5] offset:2048
	global_load_b64 v[59:60], v[1:2], off offset:2048
	global_load_b64 v[55:56], v[3:4], off offset:2048
	v_add_co_u32 v1, vcc_lo, v13, 0x4000
	v_add_co_ci_u32_e32 v2, vcc_lo, 0, v14, vcc_lo
	v_add_co_u32 v3, vcc_lo, 0x4000, v13
	v_add_co_ci_u32_e32 v4, vcc_lo, 0, v14, vcc_lo
	;; [unrolled: 2-line block ×5, first 2 shown]
	s_clause 0x7
	global_load_b64 v[51:52], v[1:2], off offset:-4096
	global_load_b64 v[47:48], v[1:2], off
	global_load_b64 v[43:44], v[9:10], off offset:-4096
	global_load_b64 v[39:40], v[9:10], off
	global_load_b64 v[49:50], v[5:6], off offset:2048
	global_load_b64 v[45:46], v[3:4], off offset:2048
	;; [unrolled: 1-line block ×4, first 2 shown]
	v_add_co_u32 v1, vcc_lo, 0x7000, v13
	v_add_co_ci_u32_e32 v2, vcc_lo, 0, v14, vcc_lo
	v_add_co_u32 v3, vcc_lo, v13, 0x8000
	v_add_co_ci_u32_e32 v4, vcc_lo, 0, v14, vcc_lo
	;; [unrolled: 2-line block ×6, first 2 shown]
	s_clause 0x7
	global_load_b64 v[35:36], v[3:4], off offset:-4096
	global_load_b64 v[31:32], v[3:4], off
	global_load_b64 v[27:28], v[9:10], off offset:-4096
	global_load_b64 v[23:24], v[9:10], off
	global_load_b64 v[33:34], v[1:2], off offset:2048
	global_load_b64 v[29:30], v[5:6], off offset:2048
	;; [unrolled: 1-line block ×4, first 2 shown]
	v_add_co_u32 v1, vcc_lo, 0xb000, v13
	v_add_co_ci_u32_e32 v2, vcc_lo, 0, v14, vcc_lo
	v_add_co_u32 v3, vcc_lo, v13, 0xc000
	v_add_co_ci_u32_e32 v4, vcc_lo, 0, v14, vcc_lo
	;; [unrolled: 2-line block ×7, first 2 shown]
	s_clause 0xa
	global_load_b64 v[19:20], v[3:4], off offset:-4096
	global_load_b64 v[15:16], v[3:4], off
	global_load_b64 v[11:12], v[7:8], off offset:-4096
	global_load_b64 v[7:8], v[7:8], off
	global_load_b64 v[17:18], v[1:2], off offset:2048
	global_load_b64 v[13:14], v[5:6], off offset:2048
	;; [unrolled: 1-line block ×4, first 2 shown]
	global_load_b64 v[3:4], v[68:69], off
	global_load_b64 v[53:54], v[53:54], off offset:-4096
	global_load_b64 v[1:2], v[68:69], off offset:2048
	s_cbranch_scc1 .LBB119_5
; %bb.1:
	v_cmp_ne_u32_e32 vcc_lo, 0xff, v0
	v_or_b32_e32 v0, 0x800, v67
	s_branch .LBB119_3
.LBB119_2:                              ;   in Loop: Header=BB119_3 Depth=1
	s_or_b32 exec_lo, exec_lo, s1
	v_add_f64 v[68:69], v[63:64], -v[61:62]
	v_add_f64 v[70:71], v[61:62], -v[53:54]
	;; [unrolled: 1-line block ×13, first 2 shown]
	s_waitcnt lgkmcnt(0)
	v_add_f64 v[65:66], v[1:2], -v[65:66]
	s_add_i32 s0, s0, -1
	s_delay_alu instid0(SALU_CYCLE_1)
	s_cmp_lg_u32 s0, 0
	s_barrier
	buffer_gl0_inv
	v_add_f64 v[63:64], v[63:64], v[68:69]
	v_add_f64 v[68:69], v[37:38], -v[35:36]
	v_add_f64 v[61:62], v[61:62], v[70:71]
	v_add_f64 v[70:71], v[35:36], -v[33:34]
	;; [unrolled: 2-line block ×18, first 2 shown]
	v_add_f64 v[27:28], v[27:28], v[78:79]
	v_add_f64 v[1:2], v[1:2], v[65:66]
	;; [unrolled: 1-line block ×14, first 2 shown]
	s_cbranch_scc0 .LBB119_5
.LBB119_3:                              ; =>This Inner Loop Header: Depth=1
	v_mov_b32_e32 v65, 0
	v_mov_b32_e32 v66, 0x405ec000
	s_waitcnt vmcnt(30)
	ds_store_b64 v67, v[63:64] offset:2048
	s_waitcnt vmcnt(0) lgkmcnt(0)
	s_barrier
	buffer_gl0_inv
	s_and_saveexec_b32 s1, vcc_lo
	s_cbranch_execz .LBB119_2
; %bb.4:                                ;   in Loop: Header=BB119_3 Depth=1
	ds_load_b64 v[65:66], v0 offset:8
	s_branch .LBB119_2
.LBB119_5:
	s_add_u32 s0, s6, s2
	s_addc_u32 s1, s7, s3
	v_add_co_u32 v0, s2, s0, v67
	s_delay_alu instid0(VALU_DEP_1) | instskip(NEXT) | instid1(VALU_DEP_2)
	v_add_co_ci_u32_e64 v72, null, s1, 0, s2
	v_add_co_u32 v65, vcc_lo, 0x1000, v0
	s_delay_alu instid0(VALU_DEP_2)
	v_add_co_ci_u32_e32 v66, vcc_lo, 0, v72, vcc_lo
	v_add_co_u32 v68, vcc_lo, v0, 0x2000
	v_add_co_ci_u32_e32 v69, vcc_lo, 0, v72, vcc_lo
	v_add_co_u32 v70, vcc_lo, 0x2000, v0
	v_add_co_ci_u32_e32 v71, vcc_lo, 0, v72, vcc_lo
	s_waitcnt vmcnt(31)
	global_store_b64 v[68:69], v[57:58], off
	s_waitcnt vmcnt(30)
	global_store_b64 v67, v[63:64], s[0:1]
	s_waitcnt vmcnt(29)
	global_store_b64 v67, v[61:62], s[0:1] offset:2048
	s_waitcnt vmcnt(28)
	global_store_b64 v[65:66], v[59:60], off offset:2048
	s_waitcnt vmcnt(27)
	global_store_b64 v[70:71], v[55:56], off offset:2048
	v_add_co_u32 v55, vcc_lo, 0x3000, v0
	v_add_co_ci_u32_e32 v56, vcc_lo, 0, v72, vcc_lo
	v_add_co_u32 v57, vcc_lo, v0, 0x4000
	v_add_co_ci_u32_e32 v58, vcc_lo, 0, v72, vcc_lo
	;; [unrolled: 2-line block ×6, first 2 shown]
	s_waitcnt vmcnt(26)
	global_store_b64 v[57:58], v[51:52], off offset:-4096
	s_waitcnt vmcnt(25)
	global_store_b64 v[57:58], v[47:48], off
	s_waitcnt vmcnt(24)
	global_store_b64 v[63:64], v[43:44], off offset:-4096
	s_waitcnt vmcnt(23)
	global_store_b64 v[63:64], v[39:40], off
	s_waitcnt vmcnt(22)
	global_store_b64 v[55:56], v[49:50], off offset:2048
	s_waitcnt vmcnt(21)
	global_store_b64 v[59:60], v[45:46], off offset:2048
	;; [unrolled: 2-line block ×4, first 2 shown]
	v_add_co_u32 v37, vcc_lo, 0x7000, v0
	v_add_co_ci_u32_e32 v38, vcc_lo, 0, v72, vcc_lo
	v_add_co_u32 v39, vcc_lo, v0, 0x8000
	v_add_co_ci_u32_e32 v40, vcc_lo, 0, v72, vcc_lo
	;; [unrolled: 2-line block ×6, first 2 shown]
	s_waitcnt vmcnt(18)
	global_store_b64 v[39:40], v[35:36], off offset:-4096
	s_waitcnt vmcnt(17)
	global_store_b64 v[39:40], v[31:32], off
	s_waitcnt vmcnt(16)
	global_store_b64 v[45:46], v[27:28], off offset:-4096
	s_waitcnt vmcnt(15)
	global_store_b64 v[45:46], v[23:24], off
	s_waitcnt vmcnt(14)
	global_store_b64 v[37:38], v[33:34], off offset:2048
	s_waitcnt vmcnt(13)
	global_store_b64 v[41:42], v[29:30], off offset:2048
	;; [unrolled: 2-line block ×4, first 2 shown]
	v_add_co_u32 v21, vcc_lo, 0xb000, v0
	v_add_co_ci_u32_e32 v22, vcc_lo, 0, v72, vcc_lo
	v_add_co_u32 v23, vcc_lo, v0, 0xc000
	v_add_co_ci_u32_e32 v24, vcc_lo, 0, v72, vcc_lo
	v_add_co_u32 v25, vcc_lo, 0xc000, v0
	v_add_co_ci_u32_e32 v26, vcc_lo, 0, v72, vcc_lo
	v_add_co_u32 v27, vcc_lo, 0xd000, v0
	v_add_co_ci_u32_e32 v28, vcc_lo, 0, v72, vcc_lo
	v_add_co_u32 v29, vcc_lo, v0, 0xe000
	v_add_co_ci_u32_e32 v30, vcc_lo, 0, v72, vcc_lo
	v_add_co_u32 v31, vcc_lo, 0xe000, v0
	v_add_co_ci_u32_e32 v32, vcc_lo, 0, v72, vcc_lo
	s_waitcnt vmcnt(10)
	global_store_b64 v[23:24], v[19:20], off offset:-4096
	s_waitcnt vmcnt(9)
	global_store_b64 v[23:24], v[15:16], off
	s_waitcnt vmcnt(8)
	global_store_b64 v[29:30], v[11:12], off offset:-4096
	s_waitcnt vmcnt(7)
	global_store_b64 v[29:30], v[7:8], off
	v_add_co_u32 v7, vcc_lo, 0xf000, v0
	v_add_co_ci_u32_e32 v8, vcc_lo, 0, v72, vcc_lo
	s_waitcnt vmcnt(6)
	global_store_b64 v[21:22], v[17:18], off offset:2048
	s_waitcnt vmcnt(5)
	global_store_b64 v[25:26], v[13:14], off offset:2048
	;; [unrolled: 2-line block ×4, first 2 shown]
	s_waitcnt vmcnt(2)
	global_store_b64 v[7:8], v[3:4], off
	s_waitcnt vmcnt(1)
	global_store_b64 v[68:69], v[53:54], off offset:-4096
	s_waitcnt vmcnt(0)
	global_store_b64 v[7:8], v[1:2], off offset:2048
	s_nop 0
	s_sendmsg sendmsg(MSG_DEALLOC_VGPRS)
	s_endpgm
	.section	.rodata,"a",@progbits
	.p2align	6, 0x0
	.amdhsa_kernel _Z6kernelI14subtract_rightLj256ELj32ELb1EJPdS1_jEEvDpT3_
		.amdhsa_group_segment_fixed_size 4096
		.amdhsa_private_segment_fixed_size 0
		.amdhsa_kernarg_size 20
		.amdhsa_user_sgpr_count 15
		.amdhsa_user_sgpr_dispatch_ptr 0
		.amdhsa_user_sgpr_queue_ptr 0
		.amdhsa_user_sgpr_kernarg_segment_ptr 1
		.amdhsa_user_sgpr_dispatch_id 0
		.amdhsa_user_sgpr_private_segment_size 0
		.amdhsa_wavefront_size32 1
		.amdhsa_uses_dynamic_stack 0
		.amdhsa_enable_private_segment 0
		.amdhsa_system_sgpr_workgroup_id_x 1
		.amdhsa_system_sgpr_workgroup_id_y 0
		.amdhsa_system_sgpr_workgroup_id_z 0
		.amdhsa_system_sgpr_workgroup_info 0
		.amdhsa_system_vgpr_workitem_id 0
		.amdhsa_next_free_vgpr 94
		.amdhsa_next_free_sgpr 16
		.amdhsa_reserve_vcc 1
		.amdhsa_float_round_mode_32 0
		.amdhsa_float_round_mode_16_64 0
		.amdhsa_float_denorm_mode_32 3
		.amdhsa_float_denorm_mode_16_64 3
		.amdhsa_dx10_clamp 1
		.amdhsa_ieee_mode 1
		.amdhsa_fp16_overflow 0
		.amdhsa_workgroup_processor_mode 1
		.amdhsa_memory_ordered 1
		.amdhsa_forward_progress 0
		.amdhsa_shared_vgpr_count 0
		.amdhsa_exception_fp_ieee_invalid_op 0
		.amdhsa_exception_fp_denorm_src 0
		.amdhsa_exception_fp_ieee_div_zero 0
		.amdhsa_exception_fp_ieee_overflow 0
		.amdhsa_exception_fp_ieee_underflow 0
		.amdhsa_exception_fp_ieee_inexact 0
		.amdhsa_exception_int_div_zero 0
	.end_amdhsa_kernel
	.section	.text._Z6kernelI14subtract_rightLj256ELj32ELb1EJPdS1_jEEvDpT3_,"axG",@progbits,_Z6kernelI14subtract_rightLj256ELj32ELb1EJPdS1_jEEvDpT3_,comdat
.Lfunc_end119:
	.size	_Z6kernelI14subtract_rightLj256ELj32ELb1EJPdS1_jEEvDpT3_, .Lfunc_end119-_Z6kernelI14subtract_rightLj256ELj32ELb1EJPdS1_jEEvDpT3_
                                        ; -- End function
	.section	.AMDGPU.csdata,"",@progbits
; Kernel info:
; codeLenInByte = 2108
; NumSgprs: 18
; NumVgprs: 94
; ScratchSize: 0
; MemoryBound: 0
; FloatMode: 240
; IeeeMode: 1
; LDSByteSize: 4096 bytes/workgroup (compile time only)
; SGPRBlocks: 2
; VGPRBlocks: 11
; NumSGPRsForWavesPerEU: 18
; NumVGPRsForWavesPerEU: 94
; Occupancy: 16
; WaveLimiterHint : 1
; COMPUTE_PGM_RSRC2:SCRATCH_EN: 0
; COMPUTE_PGM_RSRC2:USER_SGPR: 15
; COMPUTE_PGM_RSRC2:TRAP_HANDLER: 0
; COMPUTE_PGM_RSRC2:TGID_X_EN: 1
; COMPUTE_PGM_RSRC2:TGID_Y_EN: 0
; COMPUTE_PGM_RSRC2:TGID_Z_EN: 0
; COMPUTE_PGM_RSRC2:TIDIG_COMP_CNT: 0
	.section	.text._Z6kernelI26subtract_left_partial_tileLj256ELj1ELb0EJPiS1_S1_jEEvDpT3_,"axG",@progbits,_Z6kernelI26subtract_left_partial_tileLj256ELj1ELb0EJPiS1_S1_jEEvDpT3_,comdat
	.protected	_Z6kernelI26subtract_left_partial_tileLj256ELj1ELb0EJPiS1_S1_jEEvDpT3_ ; -- Begin function _Z6kernelI26subtract_left_partial_tileLj256ELj1ELb0EJPiS1_S1_jEEvDpT3_
	.globl	_Z6kernelI26subtract_left_partial_tileLj256ELj1ELb0EJPiS1_S1_jEEvDpT3_
	.p2align	8
	.type	_Z6kernelI26subtract_left_partial_tileLj256ELj1ELb0EJPiS1_S1_jEEvDpT3_,@function
_Z6kernelI26subtract_left_partial_tileLj256ELj1ELb0EJPiS1_S1_jEEvDpT3_: ; @_Z6kernelI26subtract_left_partial_tileLj256ELj1ELb0EJPiS1_S1_jEEvDpT3_
; %bb.0:
	s_clause 0x1
	s_load_b128 s[8:11], s[0:1], 0x0
	s_load_b64 s[4:5], s[0:1], 0x10
	s_lshl_b32 s12, s15, 8
	s_mov_b32 s13, 0
	v_lshlrev_b32_e32 v2, 2, v0
	s_lshl_b64 s[2:3], s[12:13], 2
	s_mov_b32 s6, s15
	s_mov_b32 s7, s13
	v_cmp_ne_u32_e32 vcc_lo, 0, v0
	s_waitcnt lgkmcnt(0)
	s_add_u32 s8, s8, s2
	s_addc_u32 s9, s9, s3
	global_load_b32 v1, v2, s[8:9]
	s_load_b32 s8, s[0:1], 0x18
	s_lshl_b64 s[0:1], s[6:7], 2
	s_delay_alu instid0(SALU_CYCLE_1)
	s_add_u32 s0, s10, s0
	s_addc_u32 s1, s11, s1
	s_load_b32 s1, s[0:1], 0x0
	s_waitcnt lgkmcnt(0)
	v_cvt_f32_u32_e32 v3, s8
	s_sub_i32 s7, 0, s8
	s_delay_alu instid0(VALU_DEP_1) | instskip(SKIP_2) | instid1(VALU_DEP_1)
	v_rcp_iflag_f32_e32 v3, v3
	s_waitcnt_depctr 0xfff
	v_mul_f32_e32 v3, 0x4f7ffffe, v3
	v_cvt_u32_f32_e32 v3, v3
	s_delay_alu instid0(VALU_DEP_1) | instskip(SKIP_1) | instid1(VALU_DEP_2)
	v_readfirstlane_b32 s6, v3
	v_add_nc_u32_e32 v3, -4, v2
	s_mul_i32 s7, s7, s6
	s_delay_alu instid0(SALU_CYCLE_1) | instskip(NEXT) | instid1(SALU_CYCLE_1)
	s_mul_hi_u32 s7, s6, s7
	s_add_i32 s6, s6, s7
	s_delay_alu instid0(SALU_CYCLE_1) | instskip(NEXT) | instid1(SALU_CYCLE_1)
	s_lshr_b32 s6, s6, 24
	s_mul_i32 s0, s6, s8
	s_add_i32 s7, s6, 1
	s_sub_i32 s0, 0x100, s0
	s_delay_alu instid0(SALU_CYCLE_1)
	s_sub_i32 s9, s0, s8
	s_cmp_ge_u32 s0, s8
	s_cselect_b32 s6, s7, s6
	s_cselect_b32 s0, s9, s0
	s_add_i32 s7, s6, 1
	s_cmp_ge_u32 s0, s8
	s_cselect_b32 s6, s7, s6
	s_max_u32 s7, s8, 1
	s_add_i32 s6, s6, 1
	s_branch .LBB120_2
	.p2align	6
.LBB120_1:                              ;   in Loop: Header=BB120_2 Depth=1
	s_or_b32 exec_lo, exec_lo, s0
	s_add_i32 s0, s6, s1
	s_delay_alu instid0(VALU_DEP_1)
	v_add_nc_u32_e32 v1, v4, v1
	s_add_i32 s7, s7, -1
	s_and_b32 s1, s0, 0xff
	s_cmp_lg_u32 s7, 0
	s_barrier
	buffer_gl0_inv
	s_cbranch_scc0 .LBB120_4
.LBB120_2:                              ; =>This Inner Loop Header: Depth=1
	v_cmp_gt_u32_e64 s0, s1, v0
	s_waitcnt vmcnt(0)
	v_mov_b32_e32 v4, v1
	ds_store_b32 v2, v1
	s_waitcnt lgkmcnt(0)
	s_barrier
	s_and_b32 s8, vcc_lo, s0
	buffer_gl0_inv
	s_and_saveexec_b32 s0, s8
	s_cbranch_execz .LBB120_1
; %bb.3:                                ;   in Loop: Header=BB120_2 Depth=1
	ds_load_b32 v4, v3
	s_waitcnt lgkmcnt(0)
	v_sub_nc_u32_e32 v4, v1, v4
	s_branch .LBB120_1
.LBB120_4:
	v_lshlrev_b32_e32 v0, 2, v0
	s_add_u32 s0, s4, s2
	s_addc_u32 s1, s5, s3
	global_store_b32 v0, v1, s[0:1]
	s_nop 0
	s_sendmsg sendmsg(MSG_DEALLOC_VGPRS)
	s_endpgm
	.section	.rodata,"a",@progbits
	.p2align	6, 0x0
	.amdhsa_kernel _Z6kernelI26subtract_left_partial_tileLj256ELj1ELb0EJPiS1_S1_jEEvDpT3_
		.amdhsa_group_segment_fixed_size 2048
		.amdhsa_private_segment_fixed_size 0
		.amdhsa_kernarg_size 28
		.amdhsa_user_sgpr_count 15
		.amdhsa_user_sgpr_dispatch_ptr 0
		.amdhsa_user_sgpr_queue_ptr 0
		.amdhsa_user_sgpr_kernarg_segment_ptr 1
		.amdhsa_user_sgpr_dispatch_id 0
		.amdhsa_user_sgpr_private_segment_size 0
		.amdhsa_wavefront_size32 1
		.amdhsa_uses_dynamic_stack 0
		.amdhsa_enable_private_segment 0
		.amdhsa_system_sgpr_workgroup_id_x 1
		.amdhsa_system_sgpr_workgroup_id_y 0
		.amdhsa_system_sgpr_workgroup_id_z 0
		.amdhsa_system_sgpr_workgroup_info 0
		.amdhsa_system_vgpr_workitem_id 0
		.amdhsa_next_free_vgpr 5
		.amdhsa_next_free_sgpr 16
		.amdhsa_reserve_vcc 1
		.amdhsa_float_round_mode_32 0
		.amdhsa_float_round_mode_16_64 0
		.amdhsa_float_denorm_mode_32 3
		.amdhsa_float_denorm_mode_16_64 3
		.amdhsa_dx10_clamp 1
		.amdhsa_ieee_mode 1
		.amdhsa_fp16_overflow 0
		.amdhsa_workgroup_processor_mode 1
		.amdhsa_memory_ordered 1
		.amdhsa_forward_progress 0
		.amdhsa_shared_vgpr_count 0
		.amdhsa_exception_fp_ieee_invalid_op 0
		.amdhsa_exception_fp_denorm_src 0
		.amdhsa_exception_fp_ieee_div_zero 0
		.amdhsa_exception_fp_ieee_overflow 0
		.amdhsa_exception_fp_ieee_underflow 0
		.amdhsa_exception_fp_ieee_inexact 0
		.amdhsa_exception_int_div_zero 0
	.end_amdhsa_kernel
	.section	.text._Z6kernelI26subtract_left_partial_tileLj256ELj1ELb0EJPiS1_S1_jEEvDpT3_,"axG",@progbits,_Z6kernelI26subtract_left_partial_tileLj256ELj1ELb0EJPiS1_S1_jEEvDpT3_,comdat
.Lfunc_end120:
	.size	_Z6kernelI26subtract_left_partial_tileLj256ELj1ELb0EJPiS1_S1_jEEvDpT3_, .Lfunc_end120-_Z6kernelI26subtract_left_partial_tileLj256ELj1ELb0EJPiS1_S1_jEEvDpT3_
                                        ; -- End function
	.section	.AMDGPU.csdata,"",@progbits
; Kernel info:
; codeLenInByte = 384
; NumSgprs: 18
; NumVgprs: 5
; ScratchSize: 0
; MemoryBound: 0
; FloatMode: 240
; IeeeMode: 1
; LDSByteSize: 2048 bytes/workgroup (compile time only)
; SGPRBlocks: 2
; VGPRBlocks: 0
; NumSGPRsForWavesPerEU: 18
; NumVGPRsForWavesPerEU: 5
; Occupancy: 16
; WaveLimiterHint : 0
; COMPUTE_PGM_RSRC2:SCRATCH_EN: 0
; COMPUTE_PGM_RSRC2:USER_SGPR: 15
; COMPUTE_PGM_RSRC2:TRAP_HANDLER: 0
; COMPUTE_PGM_RSRC2:TGID_X_EN: 1
; COMPUTE_PGM_RSRC2:TGID_Y_EN: 0
; COMPUTE_PGM_RSRC2:TGID_Z_EN: 0
; COMPUTE_PGM_RSRC2:TIDIG_COMP_CNT: 0
	.section	.text._Z6kernelI26subtract_left_partial_tileLj256ELj3ELb0EJPiS1_S1_jEEvDpT3_,"axG",@progbits,_Z6kernelI26subtract_left_partial_tileLj256ELj3ELb0EJPiS1_S1_jEEvDpT3_,comdat
	.protected	_Z6kernelI26subtract_left_partial_tileLj256ELj3ELb0EJPiS1_S1_jEEvDpT3_ ; -- Begin function _Z6kernelI26subtract_left_partial_tileLj256ELj3ELb0EJPiS1_S1_jEEvDpT3_
	.globl	_Z6kernelI26subtract_left_partial_tileLj256ELj3ELb0EJPiS1_S1_jEEvDpT3_
	.p2align	8
	.type	_Z6kernelI26subtract_left_partial_tileLj256ELj3ELb0EJPiS1_S1_jEEvDpT3_,@function
_Z6kernelI26subtract_left_partial_tileLj256ELj3ELb0EJPiS1_S1_jEEvDpT3_: ; @_Z6kernelI26subtract_left_partial_tileLj256ELj3ELb0EJPiS1_S1_jEEvDpT3_
; %bb.0:
	s_clause 0x1
	s_load_b128 s[8:11], s[0:1], 0x0
	s_load_b64 s[4:5], s[0:1], 0x10
	s_mov_b32 s13, 0
	s_mul_i32 s12, s15, 0x300
	v_lshlrev_b32_e32 v4, 2, v0
	s_lshl_b64 s[2:3], s[12:13], 2
	s_mov_b32 s6, s15
	s_mov_b32 s7, s13
	v_mad_u32_u24 v6, v0, 3, 2
	v_mad_u32_u24 v7, v0, 3, 1
	v_cmp_ne_u32_e32 vcc_lo, 0, v0
	s_waitcnt lgkmcnt(0)
	s_add_u32 s8, s8, s2
	s_addc_u32 s9, s9, s3
	s_clause 0x2
	global_load_b32 v1, v4, s[8:9]
	global_load_b32 v2, v4, s[8:9] offset:1024
	global_load_b32 v3, v4, s[8:9] offset:2048
	s_load_b32 s8, s[0:1], 0x18
	s_lshl_b64 s[0:1], s[6:7], 2
	s_delay_alu instid0(SALU_CYCLE_1) | instskip(SKIP_4) | instid1(VALU_DEP_1)
	s_add_u32 s0, s10, s0
	s_addc_u32 s1, s11, s1
	s_waitcnt lgkmcnt(0)
	v_cvt_f32_u32_e32 v5, s8
	s_sub_i32 s7, 0, s8
	v_rcp_iflag_f32_e32 v5, v5
	s_waitcnt_depctr 0xfff
	v_dual_mul_f32 v5, 0x4f7ffffe, v5 :: v_dual_add_nc_u32 v8, -4, v4
	s_delay_alu instid0(VALU_DEP_1) | instskip(NEXT) | instid1(VALU_DEP_1)
	v_cvt_u32_f32_e32 v5, v5
	v_readfirstlane_b32 s6, v5
	v_mul_u32_u24_e32 v5, 3, v0
	s_delay_alu instid0(VALU_DEP_2) | instskip(NEXT) | instid1(SALU_CYCLE_1)
	s_mul_i32 s7, s7, s6
	s_mul_hi_u32 s7, s6, s7
	s_delay_alu instid0(SALU_CYCLE_1) | instskip(NEXT) | instid1(SALU_CYCLE_1)
	s_add_i32 s6, s6, s7
	s_mul_hi_u32 s7, s6, 0x300
	s_load_b32 s6, s[0:1], 0x0
	s_mul_i32 s9, s7, s8
	s_add_i32 s1, s7, 1
	s_sub_i32 s0, 0x300, s9
	s_delay_alu instid0(SALU_CYCLE_1)
	s_sub_i32 s9, s0, s8
	s_cmp_ge_u32 s0, s8
	s_cselect_b32 s1, s1, s7
	s_cselect_b32 s0, s9, s0
	s_add_i32 s7, s1, 1
	s_cmp_ge_u32 s0, s8
	s_cselect_b32 s7, s7, s1
	s_max_u32 s8, s8, 1
	s_add_i32 s7, s7, 1
	s_set_inst_prefetch_distance 0x1
	s_branch .LBB121_2
	.p2align	6
.LBB121_1:                              ;   in Loop: Header=BB121_2 Depth=1
	s_or_b32 exec_lo, exec_lo, s0
	s_add_i32 s0, s7, s6
	s_delay_alu instid0(VALU_DEP_1)
	v_add_nc_u32_e32 v1, v11, v1
	s_mul_hi_u32 s1, s0, 0xaaaaaaab
	v_add_nc_u32_e32 v2, v10, v2
	s_lshr_b32 s1, s1, 9
	v_add_nc_u32_e32 v3, v9, v3
	s_mulk_i32 s1, 0x300
	s_add_i32 s8, s8, -1
	s_sub_i32 s6, s0, s1
	s_cmp_lg_u32 s8, 0
	s_barrier
	buffer_gl0_inv
	s_cbranch_scc0 .LBB121_4
.LBB121_2:                              ; =>This Inner Loop Header: Depth=1
	s_waitcnt vmcnt(0)
	v_sub_nc_u32_e32 v9, v3, v2
	s_waitcnt lgkmcnt(0)
	v_cmp_gt_u32_e64 s1, s6, v6
	v_sub_nc_u32_e32 v10, v2, v1
	v_cmp_gt_u32_e64 s0, s6, v5
	v_mov_b32_e32 v11, v1
	ds_store_b32 v4, v3
	v_cndmask_b32_e64 v9, v3, v9, s1
	v_cmp_gt_u32_e64 s1, s6, v7
	s_waitcnt lgkmcnt(0)
	s_barrier
	buffer_gl0_inv
	v_cndmask_b32_e64 v10, v2, v10, s1
	s_and_b32 s1, vcc_lo, s0
	s_delay_alu instid0(SALU_CYCLE_1)
	s_and_saveexec_b32 s0, s1
	s_cbranch_execz .LBB121_1
; %bb.3:                                ;   in Loop: Header=BB121_2 Depth=1
	ds_load_b32 v11, v8
	s_waitcnt lgkmcnt(0)
	v_sub_nc_u32_e32 v11, v1, v11
	s_branch .LBB121_1
.LBB121_4:
	s_set_inst_prefetch_distance 0x2
	v_lshlrev_b32_e32 v0, 2, v0
	s_add_u32 s0, s4, s2
	s_addc_u32 s1, s5, s3
	s_clause 0x2
	global_store_b32 v0, v1, s[0:1]
	global_store_b32 v0, v2, s[0:1] offset:1024
	global_store_b32 v0, v3, s[0:1] offset:2048
	s_nop 0
	s_sendmsg sendmsg(MSG_DEALLOC_VGPRS)
	s_endpgm
	.section	.rodata,"a",@progbits
	.p2align	6, 0x0
	.amdhsa_kernel _Z6kernelI26subtract_left_partial_tileLj256ELj3ELb0EJPiS1_S1_jEEvDpT3_
		.amdhsa_group_segment_fixed_size 2048
		.amdhsa_private_segment_fixed_size 0
		.amdhsa_kernarg_size 28
		.amdhsa_user_sgpr_count 15
		.amdhsa_user_sgpr_dispatch_ptr 0
		.amdhsa_user_sgpr_queue_ptr 0
		.amdhsa_user_sgpr_kernarg_segment_ptr 1
		.amdhsa_user_sgpr_dispatch_id 0
		.amdhsa_user_sgpr_private_segment_size 0
		.amdhsa_wavefront_size32 1
		.amdhsa_uses_dynamic_stack 0
		.amdhsa_enable_private_segment 0
		.amdhsa_system_sgpr_workgroup_id_x 1
		.amdhsa_system_sgpr_workgroup_id_y 0
		.amdhsa_system_sgpr_workgroup_id_z 0
		.amdhsa_system_sgpr_workgroup_info 0
		.amdhsa_system_vgpr_workitem_id 0
		.amdhsa_next_free_vgpr 12
		.amdhsa_next_free_sgpr 16
		.amdhsa_reserve_vcc 1
		.amdhsa_float_round_mode_32 0
		.amdhsa_float_round_mode_16_64 0
		.amdhsa_float_denorm_mode_32 3
		.amdhsa_float_denorm_mode_16_64 3
		.amdhsa_dx10_clamp 1
		.amdhsa_ieee_mode 1
		.amdhsa_fp16_overflow 0
		.amdhsa_workgroup_processor_mode 1
		.amdhsa_memory_ordered 1
		.amdhsa_forward_progress 0
		.amdhsa_shared_vgpr_count 0
		.amdhsa_exception_fp_ieee_invalid_op 0
		.amdhsa_exception_fp_denorm_src 0
		.amdhsa_exception_fp_ieee_div_zero 0
		.amdhsa_exception_fp_ieee_overflow 0
		.amdhsa_exception_fp_ieee_underflow 0
		.amdhsa_exception_fp_ieee_inexact 0
		.amdhsa_exception_int_div_zero 0
	.end_amdhsa_kernel
	.section	.text._Z6kernelI26subtract_left_partial_tileLj256ELj3ELb0EJPiS1_S1_jEEvDpT3_,"axG",@progbits,_Z6kernelI26subtract_left_partial_tileLj256ELj3ELb0EJPiS1_S1_jEEvDpT3_,comdat
.Lfunc_end121:
	.size	_Z6kernelI26subtract_left_partial_tileLj256ELj3ELb0EJPiS1_S1_jEEvDpT3_, .Lfunc_end121-_Z6kernelI26subtract_left_partial_tileLj256ELj3ELb0EJPiS1_S1_jEEvDpT3_
                                        ; -- End function
	.section	.AMDGPU.csdata,"",@progbits
; Kernel info:
; codeLenInByte = 524
; NumSgprs: 18
; NumVgprs: 12
; ScratchSize: 0
; MemoryBound: 0
; FloatMode: 240
; IeeeMode: 1
; LDSByteSize: 2048 bytes/workgroup (compile time only)
; SGPRBlocks: 2
; VGPRBlocks: 1
; NumSGPRsForWavesPerEU: 18
; NumVGPRsForWavesPerEU: 12
; Occupancy: 16
; WaveLimiterHint : 1
; COMPUTE_PGM_RSRC2:SCRATCH_EN: 0
; COMPUTE_PGM_RSRC2:USER_SGPR: 15
; COMPUTE_PGM_RSRC2:TRAP_HANDLER: 0
; COMPUTE_PGM_RSRC2:TGID_X_EN: 1
; COMPUTE_PGM_RSRC2:TGID_Y_EN: 0
; COMPUTE_PGM_RSRC2:TGID_Z_EN: 0
; COMPUTE_PGM_RSRC2:TIDIG_COMP_CNT: 0
	.section	.text._Z6kernelI26subtract_left_partial_tileLj256ELj4ELb0EJPiS1_S1_jEEvDpT3_,"axG",@progbits,_Z6kernelI26subtract_left_partial_tileLj256ELj4ELb0EJPiS1_S1_jEEvDpT3_,comdat
	.protected	_Z6kernelI26subtract_left_partial_tileLj256ELj4ELb0EJPiS1_S1_jEEvDpT3_ ; -- Begin function _Z6kernelI26subtract_left_partial_tileLj256ELj4ELb0EJPiS1_S1_jEEvDpT3_
	.globl	_Z6kernelI26subtract_left_partial_tileLj256ELj4ELb0EJPiS1_S1_jEEvDpT3_
	.p2align	8
	.type	_Z6kernelI26subtract_left_partial_tileLj256ELj4ELb0EJPiS1_S1_jEEvDpT3_,@function
_Z6kernelI26subtract_left_partial_tileLj256ELj4ELb0EJPiS1_S1_jEEvDpT3_: ; @_Z6kernelI26subtract_left_partial_tileLj256ELj4ELb0EJPiS1_S1_jEEvDpT3_
; %bb.0:
	s_clause 0x1
	s_load_b128 s[8:11], s[0:1], 0x0
	s_load_b64 s[4:5], s[0:1], 0x10
	s_mov_b32 s13, 0
	s_lshl_b32 s12, s15, 10
	v_lshlrev_b32_e32 v5, 2, v0
	s_lshl_b64 s[2:3], s[12:13], 2
	s_mov_b32 s6, s15
	s_mov_b32 s7, s13
	v_cmp_ne_u32_e32 vcc_lo, 0, v0
	s_waitcnt lgkmcnt(0)
	s_add_u32 s8, s8, s2
	s_addc_u32 s9, s9, s3
	s_clause 0x3
	global_load_b32 v1, v5, s[8:9]
	global_load_b32 v2, v5, s[8:9] offset:1024
	global_load_b32 v3, v5, s[8:9] offset:2048
	;; [unrolled: 1-line block ×3, first 2 shown]
	s_load_b32 s8, s[0:1], 0x18
	s_lshl_b64 s[0:1], s[6:7], 2
	s_delay_alu instid0(SALU_CYCLE_1) | instskip(SKIP_4) | instid1(VALU_DEP_1)
	s_add_u32 s0, s10, s0
	s_addc_u32 s1, s11, s1
	s_waitcnt lgkmcnt(0)
	v_cvt_f32_u32_e32 v6, s8
	s_sub_i32 s7, 0, s8
	v_rcp_iflag_f32_e32 v6, v6
	s_waitcnt_depctr 0xfff
	v_mul_f32_e32 v6, 0x4f7ffffe, v6
	v_or_b32_e32 v7, 2, v5
	v_or_b32_e32 v8, 1, v5
	v_add_nc_u32_e32 v9, -4, v5
	s_delay_alu instid0(VALU_DEP_4) | instskip(NEXT) | instid1(VALU_DEP_1)
	v_cvt_u32_f32_e32 v6, v6
	v_readfirstlane_b32 s6, v6
	v_or_b32_e32 v6, 3, v5
	s_delay_alu instid0(VALU_DEP_2) | instskip(NEXT) | instid1(SALU_CYCLE_1)
	s_mul_i32 s7, s7, s6
	s_mul_hi_u32 s7, s6, s7
	s_delay_alu instid0(SALU_CYCLE_1) | instskip(NEXT) | instid1(SALU_CYCLE_1)
	s_add_i32 s6, s6, s7
	s_lshr_b32 s7, s6, 22
	s_load_b32 s6, s[0:1], 0x0
	s_mul_i32 s9, s7, s8
	s_add_i32 s1, s7, 1
	s_sub_i32 s0, 0x400, s9
	s_delay_alu instid0(SALU_CYCLE_1)
	s_sub_i32 s9, s0, s8
	s_cmp_ge_u32 s0, s8
	s_cselect_b32 s1, s1, s7
	s_cselect_b32 s0, s9, s0
	s_add_i32 s7, s1, 1
	s_cmp_ge_u32 s0, s8
	s_cselect_b32 s7, s7, s1
	s_max_u32 s8, s8, 1
	s_add_i32 s7, s7, 1
	s_set_inst_prefetch_distance 0x1
	s_branch .LBB122_2
	.p2align	6
.LBB122_1:                              ;   in Loop: Header=BB122_2 Depth=1
	s_or_b32 exec_lo, exec_lo, s0
	s_delay_alu instid0(VALU_DEP_1)
	v_add_nc_u32_e32 v1, v13, v1
	v_add_nc_u32_e32 v2, v12, v2
	;; [unrolled: 1-line block ×3, first 2 shown]
	s_add_i32 s0, s7, s6
	v_add_nc_u32_e32 v4, v10, v4
	s_add_i32 s8, s8, -1
	s_and_b32 s6, s0, 0x3ff
	s_cmp_lg_u32 s8, 0
	s_barrier
	buffer_gl0_inv
	s_cbranch_scc0 .LBB122_4
.LBB122_2:                              ; =>This Inner Loop Header: Depth=1
	s_waitcnt vmcnt(0)
	v_sub_nc_u32_e32 v10, v4, v3
	s_waitcnt lgkmcnt(0)
	v_cmp_gt_u32_e64 s0, s6, v6
	v_sub_nc_u32_e32 v11, v3, v2
	v_sub_nc_u32_e32 v12, v2, v1
	v_cmp_gt_u32_e64 s1, s6, v8
	v_mov_b32_e32 v13, v1
	v_cndmask_b32_e64 v10, v4, v10, s0
	v_cmp_gt_u32_e64 s0, s6, v7
	ds_store_b32 v5, v4
	v_cndmask_b32_e64 v12, v2, v12, s1
	s_waitcnt lgkmcnt(0)
	s_barrier
	v_cndmask_b32_e64 v11, v3, v11, s0
	v_cmp_gt_u32_e64 s0, s6, v5
	buffer_gl0_inv
	s_and_b32 s1, vcc_lo, s0
	s_delay_alu instid0(SALU_CYCLE_1)
	s_and_saveexec_b32 s0, s1
	s_cbranch_execz .LBB122_1
; %bb.3:                                ;   in Loop: Header=BB122_2 Depth=1
	ds_load_b32 v13, v9
	s_waitcnt lgkmcnt(0)
	v_sub_nc_u32_e32 v13, v1, v13
	s_branch .LBB122_1
.LBB122_4:
	s_set_inst_prefetch_distance 0x2
	v_lshlrev_b32_e32 v0, 2, v0
	s_add_u32 s0, s4, s2
	s_addc_u32 s1, s5, s3
	s_clause 0x3
	global_store_b32 v0, v1, s[0:1]
	global_store_b32 v0, v2, s[0:1] offset:1024
	global_store_b32 v0, v3, s[0:1] offset:2048
	global_store_b32 v0, v4, s[0:1] offset:3072
	s_nop 0
	s_sendmsg sendmsg(MSG_DEALLOC_VGPRS)
	s_endpgm
	.section	.rodata,"a",@progbits
	.p2align	6, 0x0
	.amdhsa_kernel _Z6kernelI26subtract_left_partial_tileLj256ELj4ELb0EJPiS1_S1_jEEvDpT3_
		.amdhsa_group_segment_fixed_size 2048
		.amdhsa_private_segment_fixed_size 0
		.amdhsa_kernarg_size 28
		.amdhsa_user_sgpr_count 15
		.amdhsa_user_sgpr_dispatch_ptr 0
		.amdhsa_user_sgpr_queue_ptr 0
		.amdhsa_user_sgpr_kernarg_segment_ptr 1
		.amdhsa_user_sgpr_dispatch_id 0
		.amdhsa_user_sgpr_private_segment_size 0
		.amdhsa_wavefront_size32 1
		.amdhsa_uses_dynamic_stack 0
		.amdhsa_enable_private_segment 0
		.amdhsa_system_sgpr_workgroup_id_x 1
		.amdhsa_system_sgpr_workgroup_id_y 0
		.amdhsa_system_sgpr_workgroup_id_z 0
		.amdhsa_system_sgpr_workgroup_info 0
		.amdhsa_system_vgpr_workitem_id 0
		.amdhsa_next_free_vgpr 14
		.amdhsa_next_free_sgpr 16
		.amdhsa_reserve_vcc 1
		.amdhsa_float_round_mode_32 0
		.amdhsa_float_round_mode_16_64 0
		.amdhsa_float_denorm_mode_32 3
		.amdhsa_float_denorm_mode_16_64 3
		.amdhsa_dx10_clamp 1
		.amdhsa_ieee_mode 1
		.amdhsa_fp16_overflow 0
		.amdhsa_workgroup_processor_mode 1
		.amdhsa_memory_ordered 1
		.amdhsa_forward_progress 0
		.amdhsa_shared_vgpr_count 0
		.amdhsa_exception_fp_ieee_invalid_op 0
		.amdhsa_exception_fp_denorm_src 0
		.amdhsa_exception_fp_ieee_div_zero 0
		.amdhsa_exception_fp_ieee_overflow 0
		.amdhsa_exception_fp_ieee_underflow 0
		.amdhsa_exception_fp_ieee_inexact 0
		.amdhsa_exception_int_div_zero 0
	.end_amdhsa_kernel
	.section	.text._Z6kernelI26subtract_left_partial_tileLj256ELj4ELb0EJPiS1_S1_jEEvDpT3_,"axG",@progbits,_Z6kernelI26subtract_left_partial_tileLj256ELj4ELb0EJPiS1_S1_jEEvDpT3_,comdat
.Lfunc_end122:
	.size	_Z6kernelI26subtract_left_partial_tileLj256ELj4ELb0EJPiS1_S1_jEEvDpT3_, .Lfunc_end122-_Z6kernelI26subtract_left_partial_tileLj256ELj4ELb0EJPiS1_S1_jEEvDpT3_
                                        ; -- End function
	.section	.AMDGPU.csdata,"",@progbits
; Kernel info:
; codeLenInByte = 536
; NumSgprs: 18
; NumVgprs: 14
; ScratchSize: 0
; MemoryBound: 0
; FloatMode: 240
; IeeeMode: 1
; LDSByteSize: 2048 bytes/workgroup (compile time only)
; SGPRBlocks: 2
; VGPRBlocks: 1
; NumSGPRsForWavesPerEU: 18
; NumVGPRsForWavesPerEU: 14
; Occupancy: 16
; WaveLimiterHint : 1
; COMPUTE_PGM_RSRC2:SCRATCH_EN: 0
; COMPUTE_PGM_RSRC2:USER_SGPR: 15
; COMPUTE_PGM_RSRC2:TRAP_HANDLER: 0
; COMPUTE_PGM_RSRC2:TGID_X_EN: 1
; COMPUTE_PGM_RSRC2:TGID_Y_EN: 0
; COMPUTE_PGM_RSRC2:TGID_Z_EN: 0
; COMPUTE_PGM_RSRC2:TIDIG_COMP_CNT: 0
	.section	.text._Z6kernelI26subtract_left_partial_tileLj256ELj8ELb0EJPiS1_S1_jEEvDpT3_,"axG",@progbits,_Z6kernelI26subtract_left_partial_tileLj256ELj8ELb0EJPiS1_S1_jEEvDpT3_,comdat
	.protected	_Z6kernelI26subtract_left_partial_tileLj256ELj8ELb0EJPiS1_S1_jEEvDpT3_ ; -- Begin function _Z6kernelI26subtract_left_partial_tileLj256ELj8ELb0EJPiS1_S1_jEEvDpT3_
	.globl	_Z6kernelI26subtract_left_partial_tileLj256ELj8ELb0EJPiS1_S1_jEEvDpT3_
	.p2align	8
	.type	_Z6kernelI26subtract_left_partial_tileLj256ELj8ELb0EJPiS1_S1_jEEvDpT3_,@function
_Z6kernelI26subtract_left_partial_tileLj256ELj8ELb0EJPiS1_S1_jEEvDpT3_: ; @_Z6kernelI26subtract_left_partial_tileLj256ELj8ELb0EJPiS1_S1_jEEvDpT3_
; %bb.0:
	s_clause 0x1
	s_load_b128 s[4:7], s[0:1], 0x0
	s_load_b64 s[8:9], s[0:1], 0x10
	s_mov_b32 s13, 0
	s_lshl_b32 s12, s15, 11
	v_lshlrev_b32_e32 v9, 2, v0
	s_lshl_b64 s[2:3], s[12:13], 2
	s_mov_b32 s10, s15
	s_waitcnt lgkmcnt(0)
	s_add_u32 s4, s4, s2
	s_addc_u32 s5, s5, s3
	v_add_co_u32 v1, s11, s4, v9
	s_delay_alu instid0(VALU_DEP_1) | instskip(SKIP_1) | instid1(VALU_DEP_2)
	v_add_co_ci_u32_e64 v2, null, s5, 0, s11
	s_mov_b32 s11, s13
	v_add_co_u32 v10, vcc_lo, 0x1000, v1
	s_delay_alu instid0(VALU_DEP_2)
	v_add_co_ci_u32_e32 v11, vcc_lo, 0, v2, vcc_lo
	s_clause 0x7
	global_load_b32 v1, v9, s[4:5]
	global_load_b32 v2, v9, s[4:5] offset:1024
	global_load_b32 v3, v9, s[4:5] offset:2048
	;; [unrolled: 1-line block ×3, first 2 shown]
	global_load_b32 v5, v[10:11], off
	global_load_b32 v6, v[10:11], off offset:1024
	global_load_b32 v7, v[10:11], off offset:2048
	;; [unrolled: 1-line block ×3, first 2 shown]
	s_load_b32 s5, s[0:1], 0x18
	s_lshl_b64 s[0:1], s[10:11], 2
	v_cmp_ne_u32_e32 vcc_lo, 0, v0
	s_add_u32 s0, s6, s0
	s_addc_u32 s1, s7, s1
	s_load_b32 s1, s[0:1], 0x0
	s_waitcnt lgkmcnt(0)
	v_cvt_f32_u32_e32 v10, s5
	s_sub_i32 s6, 0, s5
	s_delay_alu instid0(VALU_DEP_1) | instskip(SKIP_3) | instid1(VALU_DEP_2)
	v_rcp_iflag_f32_e32 v10, v10
	s_waitcnt_depctr 0xfff
	v_mul_f32_e32 v10, 0x4f7ffffe, v10
	v_add_nc_u32_e32 v18, -4, v9
	v_cvt_u32_f32_e32 v10, v10
	s_delay_alu instid0(VALU_DEP_1) | instskip(SKIP_1) | instid1(VALU_DEP_2)
	v_readfirstlane_b32 s4, v10
	v_lshlrev_b32_e32 v10, 3, v0
	s_mul_i32 s6, s6, s4
	s_delay_alu instid0(VALU_DEP_1)
	v_or_b32_e32 v11, 7, v10
	s_mul_hi_u32 s6, s4, s6
	v_or_b32_e32 v12, 6, v10
	s_add_i32 s4, s4, s6
	v_or_b32_e32 v13, 5, v10
	s_lshr_b32 s4, s4, 21
	v_or_b32_e32 v14, 4, v10
	s_mul_i32 s6, s4, s5
	s_add_i32 s7, s4, 1
	s_sub_i32 s6, 0x800, s6
	v_or_b32_e32 v15, 3, v10
	s_sub_i32 s10, s6, s5
	s_cmp_ge_u32 s6, s5
	v_or_b32_e32 v16, 2, v10
	s_cselect_b32 s0, s7, s4
	s_cselect_b32 s4, s10, s6
	s_add_i32 s6, s0, 1
	s_cmp_ge_u32 s4, s5
	v_or_b32_e32 v17, 1, v10
	s_cselect_b32 s4, s6, s0
	s_max_u32 s5, s5, 1
	s_add_i32 s4, s4, 1
	s_branch .LBB123_2
.LBB123_1:                              ;   in Loop: Header=BB123_2 Depth=1
	s_or_b32 exec_lo, exec_lo, s0
	v_cmp_gt_u32_e64 s0, s1, v11
	s_add_i32 s5, s5, -1
	s_barrier
	buffer_gl0_inv
	v_cndmask_b32_e64 v20, 0, v7, s0
	v_cmp_gt_u32_e64 s0, s1, v12
	s_delay_alu instid0(VALU_DEP_2) | instskip(NEXT) | instid1(VALU_DEP_2)
	v_sub_nc_u32_e32 v20, v8, v20
	v_cndmask_b32_e64 v21, 0, v6, s0
	v_cmp_gt_u32_e64 s0, s1, v13
	s_delay_alu instid0(VALU_DEP_3) | instskip(NEXT) | instid1(VALU_DEP_3)
	v_add_nc_u32_e32 v8, v20, v8
	v_sub_nc_u32_e32 v21, v7, v21
	s_delay_alu instid0(VALU_DEP_3) | instskip(SKIP_1) | instid1(VALU_DEP_3)
	v_cndmask_b32_e64 v22, 0, v5, s0
	v_cmp_gt_u32_e64 s0, s1, v15
	v_add_nc_u32_e32 v7, v21, v7
	s_delay_alu instid0(VALU_DEP_3) | instskip(NEXT) | instid1(VALU_DEP_3)
	v_sub_nc_u32_e32 v22, v6, v22
	v_cndmask_b32_e64 v23, 0, v3, s0
	v_cmp_gt_u32_e64 s0, s1, v17
	s_delay_alu instid0(VALU_DEP_3) | instskip(NEXT) | instid1(VALU_DEP_3)
	v_add_nc_u32_e32 v6, v22, v6
	v_sub_nc_u32_e32 v23, v4, v23
	s_delay_alu instid0(VALU_DEP_3) | instskip(SKIP_2) | instid1(VALU_DEP_3)
	v_cndmask_b32_e64 v24, 0, v1, s0
	v_cmp_gt_u32_e64 s0, s1, v16
	v_add_nc_u32_e32 v1, v19, v1
	v_sub_nc_u32_e32 v24, v2, v24
	s_delay_alu instid0(VALU_DEP_3) | instskip(SKIP_1) | instid1(VALU_DEP_3)
	v_cndmask_b32_e64 v25, 0, v2, s0
	v_cmp_gt_u32_e64 s0, s1, v14
	v_add_nc_u32_e32 v2, v24, v2
	s_delay_alu instid0(VALU_DEP_3) | instskip(NEXT) | instid1(VALU_DEP_3)
	v_sub_nc_u32_e32 v25, v3, v25
	v_cndmask_b32_e64 v26, 0, v4, s0
	v_add_nc_u32_e32 v4, v23, v4
	s_add_i32 s0, s4, s1
	s_delay_alu instid0(VALU_DEP_3) | instskip(NEXT) | instid1(VALU_DEP_3)
	v_add_nc_u32_e32 v3, v25, v3
	v_sub_nc_u32_e32 v26, v5, v26
	s_and_b32 s1, s0, 0x7ff
	s_cmp_lg_u32 s5, 0
	s_delay_alu instid0(VALU_DEP_1)
	v_add_nc_u32_e32 v5, v26, v5
	s_cbranch_scc0 .LBB123_4
.LBB123_2:                              ; =>This Inner Loop Header: Depth=1
	v_cmp_gt_u32_e64 s0, s1, v10
	s_waitcnt vmcnt(7)
	v_mov_b32_e32 v19, v1
	s_waitcnt vmcnt(0)
	ds_store_b32 v9, v8
	s_waitcnt lgkmcnt(0)
	s_barrier
	s_and_b32 s6, vcc_lo, s0
	buffer_gl0_inv
	s_and_saveexec_b32 s0, s6
	s_cbranch_execz .LBB123_1
; %bb.3:                                ;   in Loop: Header=BB123_2 Depth=1
	ds_load_b32 v19, v18
	s_waitcnt lgkmcnt(0)
	v_sub_nc_u32_e32 v19, v1, v19
	s_branch .LBB123_1
.LBB123_4:
	v_lshlrev_b32_e32 v0, 2, v0
	s_add_u32 s0, s8, s2
	s_addc_u32 s1, s9, s3
	s_delay_alu instid0(VALU_DEP_1) | instskip(NEXT) | instid1(VALU_DEP_1)
	v_add_co_u32 v9, s2, s0, v0
	v_add_co_ci_u32_e64 v10, null, s1, 0, s2
	s_delay_alu instid0(VALU_DEP_2) | instskip(NEXT) | instid1(VALU_DEP_2)
	v_add_co_u32 v9, vcc_lo, 0x1000, v9
	v_add_co_ci_u32_e32 v10, vcc_lo, 0, v10, vcc_lo
	s_clause 0x7
	global_store_b32 v0, v1, s[0:1]
	global_store_b32 v0, v2, s[0:1] offset:1024
	global_store_b32 v0, v3, s[0:1] offset:2048
	;; [unrolled: 1-line block ×3, first 2 shown]
	global_store_b32 v[9:10], v5, off
	global_store_b32 v[9:10], v6, off offset:1024
	global_store_b32 v[9:10], v7, off offset:2048
	;; [unrolled: 1-line block ×3, first 2 shown]
	s_nop 0
	s_sendmsg sendmsg(MSG_DEALLOC_VGPRS)
	s_endpgm
	.section	.rodata,"a",@progbits
	.p2align	6, 0x0
	.amdhsa_kernel _Z6kernelI26subtract_left_partial_tileLj256ELj8ELb0EJPiS1_S1_jEEvDpT3_
		.amdhsa_group_segment_fixed_size 2048
		.amdhsa_private_segment_fixed_size 0
		.amdhsa_kernarg_size 28
		.amdhsa_user_sgpr_count 15
		.amdhsa_user_sgpr_dispatch_ptr 0
		.amdhsa_user_sgpr_queue_ptr 0
		.amdhsa_user_sgpr_kernarg_segment_ptr 1
		.amdhsa_user_sgpr_dispatch_id 0
		.amdhsa_user_sgpr_private_segment_size 0
		.amdhsa_wavefront_size32 1
		.amdhsa_uses_dynamic_stack 0
		.amdhsa_enable_private_segment 0
		.amdhsa_system_sgpr_workgroup_id_x 1
		.amdhsa_system_sgpr_workgroup_id_y 0
		.amdhsa_system_sgpr_workgroup_id_z 0
		.amdhsa_system_sgpr_workgroup_info 0
		.amdhsa_system_vgpr_workitem_id 0
		.amdhsa_next_free_vgpr 27
		.amdhsa_next_free_sgpr 16
		.amdhsa_reserve_vcc 1
		.amdhsa_float_round_mode_32 0
		.amdhsa_float_round_mode_16_64 0
		.amdhsa_float_denorm_mode_32 3
		.amdhsa_float_denorm_mode_16_64 3
		.amdhsa_dx10_clamp 1
		.amdhsa_ieee_mode 1
		.amdhsa_fp16_overflow 0
		.amdhsa_workgroup_processor_mode 1
		.amdhsa_memory_ordered 1
		.amdhsa_forward_progress 0
		.amdhsa_shared_vgpr_count 0
		.amdhsa_exception_fp_ieee_invalid_op 0
		.amdhsa_exception_fp_denorm_src 0
		.amdhsa_exception_fp_ieee_div_zero 0
		.amdhsa_exception_fp_ieee_overflow 0
		.amdhsa_exception_fp_ieee_underflow 0
		.amdhsa_exception_fp_ieee_inexact 0
		.amdhsa_exception_int_div_zero 0
	.end_amdhsa_kernel
	.section	.text._Z6kernelI26subtract_left_partial_tileLj256ELj8ELb0EJPiS1_S1_jEEvDpT3_,"axG",@progbits,_Z6kernelI26subtract_left_partial_tileLj256ELj8ELb0EJPiS1_S1_jEEvDpT3_,comdat
.Lfunc_end123:
	.size	_Z6kernelI26subtract_left_partial_tileLj256ELj8ELb0EJPiS1_S1_jEEvDpT3_, .Lfunc_end123-_Z6kernelI26subtract_left_partial_tileLj256ELj8ELb0EJPiS1_S1_jEEvDpT3_
                                        ; -- End function
	.section	.AMDGPU.csdata,"",@progbits
; Kernel info:
; codeLenInByte = 812
; NumSgprs: 18
; NumVgprs: 27
; ScratchSize: 0
; MemoryBound: 0
; FloatMode: 240
; IeeeMode: 1
; LDSByteSize: 2048 bytes/workgroup (compile time only)
; SGPRBlocks: 2
; VGPRBlocks: 3
; NumSGPRsForWavesPerEU: 18
; NumVGPRsForWavesPerEU: 27
; Occupancy: 16
; WaveLimiterHint : 1
; COMPUTE_PGM_RSRC2:SCRATCH_EN: 0
; COMPUTE_PGM_RSRC2:USER_SGPR: 15
; COMPUTE_PGM_RSRC2:TRAP_HANDLER: 0
; COMPUTE_PGM_RSRC2:TGID_X_EN: 1
; COMPUTE_PGM_RSRC2:TGID_Y_EN: 0
; COMPUTE_PGM_RSRC2:TGID_Z_EN: 0
; COMPUTE_PGM_RSRC2:TIDIG_COMP_CNT: 0
	.section	.text._Z6kernelI26subtract_left_partial_tileLj256ELj16ELb0EJPiS1_S1_jEEvDpT3_,"axG",@progbits,_Z6kernelI26subtract_left_partial_tileLj256ELj16ELb0EJPiS1_S1_jEEvDpT3_,comdat
	.protected	_Z6kernelI26subtract_left_partial_tileLj256ELj16ELb0EJPiS1_S1_jEEvDpT3_ ; -- Begin function _Z6kernelI26subtract_left_partial_tileLj256ELj16ELb0EJPiS1_S1_jEEvDpT3_
	.globl	_Z6kernelI26subtract_left_partial_tileLj256ELj16ELb0EJPiS1_S1_jEEvDpT3_
	.p2align	8
	.type	_Z6kernelI26subtract_left_partial_tileLj256ELj16ELb0EJPiS1_S1_jEEvDpT3_,@function
_Z6kernelI26subtract_left_partial_tileLj256ELj16ELb0EJPiS1_S1_jEEvDpT3_: ; @_Z6kernelI26subtract_left_partial_tileLj256ELj16ELb0EJPiS1_S1_jEEvDpT3_
; %bb.0:
	s_clause 0x1
	s_load_b128 s[4:7], s[0:1], 0x0
	s_load_b64 s[8:9], s[0:1], 0x10
	s_mov_b32 s13, 0
	s_lshl_b32 s12, s15, 12
	v_lshlrev_b32_e32 v17, 2, v0
	s_lshl_b64 s[2:3], s[12:13], 2
	s_mov_b32 s10, s15
	s_waitcnt lgkmcnt(0)
	s_add_u32 s4, s4, s2
	s_addc_u32 s5, s5, s3
	v_add_co_u32 v10, s11, s4, v17
	s_delay_alu instid0(VALU_DEP_1)
	v_add_co_ci_u32_e64 v11, null, s5, 0, s11
	s_clause 0x3
	global_load_b32 v4, v17, s[4:5]
	global_load_b32 v3, v17, s[4:5] offset:1024
	global_load_b32 v2, v17, s[4:5] offset:2048
	;; [unrolled: 1-line block ×3, first 2 shown]
	v_add_co_u32 v6, vcc_lo, 0x1000, v10
	v_add_co_ci_u32_e32 v7, vcc_lo, 0, v11, vcc_lo
	v_add_co_u32 v8, vcc_lo, v10, 0x2000
	v_add_co_ci_u32_e32 v9, vcc_lo, 0, v11, vcc_lo
	;; [unrolled: 2-line block ×3, first 2 shown]
	v_add_co_u32 v20, vcc_lo, 0x3000, v10
	s_clause 0x1
	global_load_b32 v5, v[8:9], off offset:-4096
	global_load_b32 v16, v[8:9], off
	v_add_co_ci_u32_e32 v21, vcc_lo, 0, v11, vcc_lo
	s_clause 0x9
	global_load_b32 v15, v[6:7], off offset:1024
	global_load_b32 v14, v[6:7], off offset:2048
	;; [unrolled: 1-line block ×6, first 2 shown]
	global_load_b32 v9, v[20:21], off
	global_load_b32 v8, v[20:21], off offset:1024
	global_load_b32 v7, v[20:21], off offset:2048
	;; [unrolled: 1-line block ×3, first 2 shown]
	s_load_b32 s5, s[0:1], 0x18
	s_mov_b32 s11, s13
	v_cmp_ne_u32_e32 vcc_lo, 0, v0
	s_lshl_b64 s[0:1], s[10:11], 2
	s_delay_alu instid0(SALU_CYCLE_1)
	s_add_u32 s0, s6, s0
	s_addc_u32 s1, s7, s1
	s_load_b32 s1, s[0:1], 0x0
	s_waitcnt lgkmcnt(0)
	v_cvt_f32_u32_e32 v18, s5
	s_sub_i32 s6, 0, s5
	s_delay_alu instid0(VALU_DEP_1) | instskip(SKIP_3) | instid1(VALU_DEP_2)
	v_rcp_iflag_f32_e32 v18, v18
	s_waitcnt_depctr 0xfff
	v_mul_f32_e32 v18, 0x4f7ffffe, v18
	v_add_nc_u32_e32 v34, -4, v17
	v_cvt_u32_f32_e32 v18, v18
	s_delay_alu instid0(VALU_DEP_1) | instskip(SKIP_1) | instid1(VALU_DEP_2)
	v_readfirstlane_b32 s4, v18
	v_lshlrev_b32_e32 v18, 4, v0
	s_mul_i32 s6, s6, s4
	s_delay_alu instid0(VALU_DEP_1)
	v_or_b32_e32 v19, 15, v18
	s_mul_hi_u32 s6, s4, s6
	v_or_b32_e32 v20, 14, v18
	s_add_i32 s4, s4, s6
	v_or_b32_e32 v21, 13, v18
	s_lshr_b32 s4, s4, 20
	v_or_b32_e32 v22, 12, v18
	s_mul_i32 s6, s4, s5
	s_add_i32 s7, s4, 1
	s_sub_i32 s6, 0x1000, s6
	v_or_b32_e32 v23, 11, v18
	s_sub_i32 s10, s6, s5
	s_cmp_ge_u32 s6, s5
	v_or_b32_e32 v24, 10, v18
	s_cselect_b32 s4, s7, s4
	s_cselect_b32 s6, s10, s6
	s_add_i32 s7, s4, 1
	s_cmp_ge_u32 s6, s5
	v_or_b32_e32 v25, 9, v18
	v_or_b32_e32 v26, 8, v18
	v_or_b32_e32 v27, 7, v18
	v_or_b32_e32 v28, 6, v18
	v_or_b32_e32 v29, 5, v18
	v_or_b32_e32 v30, 4, v18
	v_or_b32_e32 v31, 3, v18
	v_or_b32_e32 v32, 2, v18
	v_or_b32_e32 v33, 1, v18
	s_cselect_b32 s4, s7, s4
	s_max_u32 s5, s5, 1
	s_add_i32 s4, s4, 1
	s_branch .LBB124_2
.LBB124_1:                              ;   in Loop: Header=BB124_2 Depth=1
	s_or_b32 exec_lo, exec_lo, s0
	v_cmp_gt_u32_e64 s0, s1, v19
	s_add_i32 s5, s5, -1
	s_barrier
	buffer_gl0_inv
	v_cndmask_b32_e64 v36, 0, v7, s0
	v_cmp_gt_u32_e64 s0, s1, v20
	s_delay_alu instid0(VALU_DEP_2) | instskip(NEXT) | instid1(VALU_DEP_2)
	v_sub_nc_u32_e32 v36, v6, v36
	v_cndmask_b32_e64 v37, 0, v8, s0
	v_cmp_gt_u32_e64 s0, s1, v21
	s_delay_alu instid0(VALU_DEP_3) | instskip(NEXT) | instid1(VALU_DEP_3)
	v_add_nc_u32_e32 v6, v36, v6
	v_sub_nc_u32_e32 v37, v7, v37
	s_delay_alu instid0(VALU_DEP_3) | instskip(SKIP_1) | instid1(VALU_DEP_3)
	v_cndmask_b32_e64 v38, 0, v9, s0
	v_cmp_gt_u32_e64 s0, s1, v22
	v_add_nc_u32_e32 v7, v37, v7
	s_delay_alu instid0(VALU_DEP_3) | instskip(NEXT) | instid1(VALU_DEP_3)
	v_sub_nc_u32_e32 v38, v8, v38
	v_cndmask_b32_e64 v39, 0, v10, s0
	v_cmp_gt_u32_e64 s0, s1, v23
	s_delay_alu instid0(VALU_DEP_3) | instskip(NEXT) | instid1(VALU_DEP_3)
	v_add_nc_u32_e32 v8, v38, v8
	v_sub_nc_u32_e32 v39, v9, v39
	s_delay_alu instid0(VALU_DEP_3) | instskip(SKIP_1) | instid1(VALU_DEP_3)
	v_cndmask_b32_e64 v40, 0, v11, s0
	v_cmp_gt_u32_e64 s0, s1, v24
	v_add_nc_u32_e32 v9, v39, v9
	s_delay_alu instid0(VALU_DEP_3) | instskip(NEXT) | instid1(VALU_DEP_3)
	;; [unrolled: 11-line block ×5, first 2 shown]
	v_sub_nc_u32_e32 v46, v15, v46
	v_cndmask_b32_e64 v47, 0, v2, s0
	v_cmp_gt_u32_e64 s0, s1, v33
	s_delay_alu instid0(VALU_DEP_3) | instskip(NEXT) | instid1(VALU_DEP_3)
	v_add_nc_u32_e32 v15, v46, v15
	v_sub_nc_u32_e32 v47, v1, v47
	s_delay_alu instid0(VALU_DEP_3) | instskip(SKIP_2) | instid1(VALU_DEP_3)
	v_cndmask_b32_e64 v48, 0, v4, s0
	v_cmp_gt_u32_e64 s0, s1, v32
	v_add_nc_u32_e32 v4, v35, v4
	v_sub_nc_u32_e32 v48, v3, v48
	s_delay_alu instid0(VALU_DEP_3) | instskip(SKIP_1) | instid1(VALU_DEP_3)
	v_cndmask_b32_e64 v49, 0, v3, s0
	v_cmp_gt_u32_e64 s0, s1, v30
	v_add_nc_u32_e32 v3, v48, v3
	s_delay_alu instid0(VALU_DEP_3) | instskip(NEXT) | instid1(VALU_DEP_3)
	v_sub_nc_u32_e32 v49, v2, v49
	v_cndmask_b32_e64 v50, 0, v1, s0
	v_add_nc_u32_e32 v1, v47, v1
	s_add_i32 s0, s4, s1
	s_delay_alu instid0(VALU_DEP_3) | instskip(NEXT) | instid1(VALU_DEP_3)
	v_add_nc_u32_e32 v2, v49, v2
	v_sub_nc_u32_e32 v50, v5, v50
	s_and_b32 s1, s0, 0xfff
	s_cmp_lg_u32 s5, 0
	s_delay_alu instid0(VALU_DEP_1)
	v_add_nc_u32_e32 v5, v50, v5
	s_cbranch_scc0 .LBB124_4
.LBB124_2:                              ; =>This Inner Loop Header: Depth=1
	v_cmp_gt_u32_e64 s0, s1, v18
	s_waitcnt vmcnt(15)
	v_mov_b32_e32 v35, v4
	s_waitcnt vmcnt(0)
	ds_store_b32 v17, v6
	s_waitcnt lgkmcnt(0)
	s_barrier
	s_and_b32 s6, vcc_lo, s0
	buffer_gl0_inv
	s_and_saveexec_b32 s0, s6
	s_cbranch_execz .LBB124_1
; %bb.3:                                ;   in Loop: Header=BB124_2 Depth=1
	ds_load_b32 v35, v34
	s_waitcnt lgkmcnt(0)
	v_sub_nc_u32_e32 v35, v4, v35
	s_branch .LBB124_1
.LBB124_4:
	v_lshlrev_b32_e32 v0, 2, v0
	s_add_u32 s0, s8, s2
	s_addc_u32 s1, s9, s3
	s_delay_alu instid0(VALU_DEP_1) | instskip(NEXT) | instid1(VALU_DEP_1)
	v_add_co_u32 v23, s2, s0, v0
	v_add_co_ci_u32_e64 v24, null, s1, 0, s2
	s_delay_alu instid0(VALU_DEP_2) | instskip(NEXT) | instid1(VALU_DEP_2)
	v_add_co_u32 v17, vcc_lo, 0x1000, v23
	v_add_co_ci_u32_e32 v18, vcc_lo, 0, v24, vcc_lo
	v_add_co_u32 v19, vcc_lo, v23, 0x2000
	v_add_co_ci_u32_e32 v20, vcc_lo, 0, v24, vcc_lo
	;; [unrolled: 2-line block ×3, first 2 shown]
	v_add_co_u32 v23, vcc_lo, 0x3000, v23
	global_store_b32 v[19:20], v16, off
	v_add_co_ci_u32_e32 v24, vcc_lo, 0, v24, vcc_lo
	s_clause 0xe
	global_store_b32 v0, v4, s[0:1]
	global_store_b32 v0, v3, s[0:1] offset:1024
	global_store_b32 v0, v2, s[0:1] offset:2048
	;; [unrolled: 1-line block ×3, first 2 shown]
	global_store_b32 v[17:18], v15, off offset:1024
	global_store_b32 v[17:18], v14, off offset:2048
	;; [unrolled: 1-line block ×6, first 2 shown]
	global_store_b32 v[23:24], v9, off
	global_store_b32 v[23:24], v8, off offset:1024
	global_store_b32 v[23:24], v7, off offset:2048
	global_store_b32 v[19:20], v5, off offset:-4096
	global_store_b32 v[23:24], v6, off offset:3072
	s_nop 0
	s_sendmsg sendmsg(MSG_DEALLOC_VGPRS)
	s_endpgm
	.section	.rodata,"a",@progbits
	.p2align	6, 0x0
	.amdhsa_kernel _Z6kernelI26subtract_left_partial_tileLj256ELj16ELb0EJPiS1_S1_jEEvDpT3_
		.amdhsa_group_segment_fixed_size 2048
		.amdhsa_private_segment_fixed_size 0
		.amdhsa_kernarg_size 28
		.amdhsa_user_sgpr_count 15
		.amdhsa_user_sgpr_dispatch_ptr 0
		.amdhsa_user_sgpr_queue_ptr 0
		.amdhsa_user_sgpr_kernarg_segment_ptr 1
		.amdhsa_user_sgpr_dispatch_id 0
		.amdhsa_user_sgpr_private_segment_size 0
		.amdhsa_wavefront_size32 1
		.amdhsa_uses_dynamic_stack 0
		.amdhsa_enable_private_segment 0
		.amdhsa_system_sgpr_workgroup_id_x 1
		.amdhsa_system_sgpr_workgroup_id_y 0
		.amdhsa_system_sgpr_workgroup_id_z 0
		.amdhsa_system_sgpr_workgroup_info 0
		.amdhsa_system_vgpr_workitem_id 0
		.amdhsa_next_free_vgpr 51
		.amdhsa_next_free_sgpr 16
		.amdhsa_reserve_vcc 1
		.amdhsa_float_round_mode_32 0
		.amdhsa_float_round_mode_16_64 0
		.amdhsa_float_denorm_mode_32 3
		.amdhsa_float_denorm_mode_16_64 3
		.amdhsa_dx10_clamp 1
		.amdhsa_ieee_mode 1
		.amdhsa_fp16_overflow 0
		.amdhsa_workgroup_processor_mode 1
		.amdhsa_memory_ordered 1
		.amdhsa_forward_progress 0
		.amdhsa_shared_vgpr_count 0
		.amdhsa_exception_fp_ieee_invalid_op 0
		.amdhsa_exception_fp_denorm_src 0
		.amdhsa_exception_fp_ieee_div_zero 0
		.amdhsa_exception_fp_ieee_overflow 0
		.amdhsa_exception_fp_ieee_underflow 0
		.amdhsa_exception_fp_ieee_inexact 0
		.amdhsa_exception_int_div_zero 0
	.end_amdhsa_kernel
	.section	.text._Z6kernelI26subtract_left_partial_tileLj256ELj16ELb0EJPiS1_S1_jEEvDpT3_,"axG",@progbits,_Z6kernelI26subtract_left_partial_tileLj256ELj16ELb0EJPiS1_S1_jEEvDpT3_,comdat
.Lfunc_end124:
	.size	_Z6kernelI26subtract_left_partial_tileLj256ELj16ELb0EJPiS1_S1_jEEvDpT3_, .Lfunc_end124-_Z6kernelI26subtract_left_partial_tileLj256ELj16ELb0EJPiS1_S1_jEEvDpT3_
                                        ; -- End function
	.section	.AMDGPU.csdata,"",@progbits
; Kernel info:
; codeLenInByte = 1316
; NumSgprs: 18
; NumVgprs: 51
; ScratchSize: 0
; MemoryBound: 0
; FloatMode: 240
; IeeeMode: 1
; LDSByteSize: 2048 bytes/workgroup (compile time only)
; SGPRBlocks: 2
; VGPRBlocks: 6
; NumSGPRsForWavesPerEU: 18
; NumVGPRsForWavesPerEU: 51
; Occupancy: 16
; WaveLimiterHint : 1
; COMPUTE_PGM_RSRC2:SCRATCH_EN: 0
; COMPUTE_PGM_RSRC2:USER_SGPR: 15
; COMPUTE_PGM_RSRC2:TRAP_HANDLER: 0
; COMPUTE_PGM_RSRC2:TGID_X_EN: 1
; COMPUTE_PGM_RSRC2:TGID_Y_EN: 0
; COMPUTE_PGM_RSRC2:TGID_Z_EN: 0
; COMPUTE_PGM_RSRC2:TIDIG_COMP_CNT: 0
	.section	.text._Z6kernelI26subtract_left_partial_tileLj256ELj32ELb0EJPiS1_S1_jEEvDpT3_,"axG",@progbits,_Z6kernelI26subtract_left_partial_tileLj256ELj32ELb0EJPiS1_S1_jEEvDpT3_,comdat
	.protected	_Z6kernelI26subtract_left_partial_tileLj256ELj32ELb0EJPiS1_S1_jEEvDpT3_ ; -- Begin function _Z6kernelI26subtract_left_partial_tileLj256ELj32ELb0EJPiS1_S1_jEEvDpT3_
	.globl	_Z6kernelI26subtract_left_partial_tileLj256ELj32ELb0EJPiS1_S1_jEEvDpT3_
	.p2align	8
	.type	_Z6kernelI26subtract_left_partial_tileLj256ELj32ELb0EJPiS1_S1_jEEvDpT3_,@function
_Z6kernelI26subtract_left_partial_tileLj256ELj32ELb0EJPiS1_S1_jEEvDpT3_: ; @_Z6kernelI26subtract_left_partial_tileLj256ELj32ELb0EJPiS1_S1_jEEvDpT3_
; %bb.0:
	s_clause 0x1
	s_load_b128 s[4:7], s[0:1], 0x0
	s_load_b64 s[8:9], s[0:1], 0x10
	s_mov_b32 s13, 0
	s_lshl_b32 s12, s15, 13
	v_lshlrev_b32_e32 v25, 2, v0
	s_lshl_b64 s[2:3], s[12:13], 2
	s_mov_b32 s10, s15
	s_waitcnt lgkmcnt(0)
	s_add_u32 s4, s4, s2
	s_addc_u32 s5, s5, s3
	v_add_co_u32 v30, s11, s4, v25
	s_delay_alu instid0(VALU_DEP_1)
	v_add_co_ci_u32_e64 v31, null, s5, 0, s11
	s_clause 0x3
	global_load_b32 v5, v25, s[4:5]
	global_load_b32 v4, v25, s[4:5] offset:1024
	global_load_b32 v3, v25, s[4:5] offset:2048
	;; [unrolled: 1-line block ×3, first 2 shown]
	v_add_co_u32 v6, vcc_lo, 0x1000, v30
	v_add_co_ci_u32_e32 v7, vcc_lo, 0, v31, vcc_lo
	v_add_co_u32 v10, vcc_lo, v30, 0x2000
	v_add_co_ci_u32_e32 v11, vcc_lo, 0, v31, vcc_lo
	;; [unrolled: 2-line block ×9, first 2 shown]
	v_add_co_u32 v36, vcc_lo, 0x7000, v30
	s_clause 0xd
	global_load_b32 v29, v[6:7], off offset:1024
	global_load_b32 v28, v[6:7], off offset:2048
	;; [unrolled: 1-line block ×8, first 2 shown]
	global_load_b32 v1, v[10:11], off offset:-4096
	global_load_b32 v14, v[10:11], off
	global_load_b32 v13, v[17:18], off offset:-4096
	global_load_b32 v12, v[17:18], off
	;; [unrolled: 2-line block ×3, first 2 shown]
	v_add_co_ci_u32_e32 v37, vcc_lo, 0, v31, vcc_lo
	s_clause 0xd
	global_load_b32 v33, v[15:16], off offset:3072
	global_load_b32 v32, v[19:20], off offset:1024
	;; [unrolled: 1-line block ×10, first 2 shown]
	global_load_b32 v18, v[36:37], off
	global_load_b32 v17, v[36:37], off offset:1024
	global_load_b32 v16, v[36:37], off offset:2048
	;; [unrolled: 1-line block ×3, first 2 shown]
	s_load_b32 s5, s[0:1], 0x18
	s_mov_b32 s11, s13
	v_cmp_ne_u32_e32 vcc_lo, 0, v0
	s_lshl_b64 s[0:1], s[10:11], 2
	s_delay_alu instid0(SALU_CYCLE_1)
	s_add_u32 s0, s6, s0
	s_addc_u32 s1, s7, s1
	s_load_b32 s1, s[0:1], 0x0
	s_waitcnt lgkmcnt(0)
	v_cvt_f32_u32_e32 v34, s5
	s_sub_i32 s6, 0, s5
	s_delay_alu instid0(VALU_DEP_1) | instskip(SKIP_3) | instid1(VALU_DEP_2)
	v_rcp_iflag_f32_e32 v34, v34
	s_waitcnt_depctr 0xfff
	v_mul_f32_e32 v34, 0x4f7ffffe, v34
	v_add_nc_u32_e32 v66, -4, v25
	v_cvt_u32_f32_e32 v34, v34
	s_delay_alu instid0(VALU_DEP_1) | instskip(SKIP_1) | instid1(VALU_DEP_2)
	v_readfirstlane_b32 s4, v34
	v_lshlrev_b32_e32 v34, 5, v0
	s_mul_i32 s6, s6, s4
	s_delay_alu instid0(VALU_DEP_1)
	v_or_b32_e32 v35, 31, v34
	s_mul_hi_u32 s6, s4, s6
	v_or_b32_e32 v36, 30, v34
	s_add_i32 s4, s4, s6
	v_or_b32_e32 v37, 29, v34
	s_lshr_b32 s4, s4, 19
	v_or_b32_e32 v38, 28, v34
	s_mul_i32 s6, s4, s5
	s_add_i32 s7, s4, 1
	s_sub_i32 s6, 0x2000, s6
	v_or_b32_e32 v39, 27, v34
	s_sub_i32 s10, s6, s5
	s_cmp_ge_u32 s6, s5
	v_or_b32_e32 v40, 26, v34
	s_cselect_b32 s4, s7, s4
	s_cselect_b32 s6, s10, s6
	s_add_i32 s7, s4, 1
	s_cmp_ge_u32 s6, s5
	v_or_b32_e32 v41, 25, v34
	v_or_b32_e32 v42, 24, v34
	v_or_b32_e32 v43, 23, v34
	v_or_b32_e32 v44, 22, v34
	v_or_b32_e32 v45, 21, v34
	v_or_b32_e32 v46, 20, v34
	v_or_b32_e32 v47, 19, v34
	v_or_b32_e32 v48, 18, v34
	v_or_b32_e32 v49, 17, v34
	v_or_b32_e32 v50, 16, v34
	v_or_b32_e32 v51, 15, v34
	v_or_b32_e32 v52, 14, v34
	v_or_b32_e32 v53, 13, v34
	v_or_b32_e32 v54, 12, v34
	v_or_b32_e32 v55, 11, v34
	v_or_b32_e32 v56, 10, v34
	v_or_b32_e32 v57, 9, v34
	v_or_b32_e32 v58, 8, v34
	v_or_b32_e32 v59, 7, v34
	v_or_b32_e32 v60, 6, v34
	v_or_b32_e32 v61, 5, v34
	v_or_b32_e32 v62, 4, v34
	v_or_b32_e32 v63, 3, v34
	v_or_b32_e32 v64, 2, v34
	v_or_b32_e32 v65, 1, v34
	s_cselect_b32 s4, s7, s4
	s_max_u32 s5, s5, 1
	s_add_i32 s4, s4, 1
	s_branch .LBB125_2
.LBB125_1:                              ;   in Loop: Header=BB125_2 Depth=1
	s_or_b32 exec_lo, exec_lo, s0
	v_cmp_gt_u32_e64 s0, s1, v35
	s_add_i32 s5, s5, -1
	s_barrier
	buffer_gl0_inv
	v_cndmask_b32_e64 v68, 0, v16, s0
	v_cmp_gt_u32_e64 s0, s1, v36
	s_delay_alu instid0(VALU_DEP_2) | instskip(NEXT) | instid1(VALU_DEP_2)
	v_sub_nc_u32_e32 v68, v15, v68
	v_cndmask_b32_e64 v69, 0, v17, s0
	v_cmp_gt_u32_e64 s0, s1, v37
	s_delay_alu instid0(VALU_DEP_3) | instskip(NEXT) | instid1(VALU_DEP_3)
	v_add_nc_u32_e32 v15, v68, v15
	v_sub_nc_u32_e32 v69, v16, v69
	s_delay_alu instid0(VALU_DEP_3) | instskip(SKIP_1) | instid1(VALU_DEP_3)
	v_cndmask_b32_e64 v70, 0, v18, s0
	v_cmp_gt_u32_e64 s0, s1, v38
	v_add_nc_u32_e32 v16, v69, v16
	s_delay_alu instid0(VALU_DEP_3) | instskip(NEXT) | instid1(VALU_DEP_3)
	v_sub_nc_u32_e32 v70, v17, v70
	v_cndmask_b32_e64 v71, 0, v19, s0
	v_cmp_gt_u32_e64 s0, s1, v39
	s_delay_alu instid0(VALU_DEP_3) | instskip(NEXT) | instid1(VALU_DEP_3)
	v_add_nc_u32_e32 v17, v70, v17
	v_sub_nc_u32_e32 v71, v18, v71
	s_delay_alu instid0(VALU_DEP_3) | instskip(SKIP_1) | instid1(VALU_DEP_3)
	v_cndmask_b32_e64 v72, 0, v20, s0
	v_cmp_gt_u32_e64 s0, s1, v40
	v_add_nc_u32_e32 v18, v71, v18
	s_delay_alu instid0(VALU_DEP_3) | instskip(NEXT) | instid1(VALU_DEP_3)
	;; [unrolled: 11-line block ×9, first 2 shown]
	v_sub_nc_u32_e32 v86, v9, v86
	v_cndmask_b32_e64 v87, 0, v5, s0
	v_cmp_gt_u32_e64 s0, s1, v64
	v_add_nc_u32_e32 v5, v67, v5
	s_delay_alu instid0(VALU_DEP_4) | instskip(NEXT) | instid1(VALU_DEP_4)
	v_add_nc_u32_e32 v9, v86, v9
	v_sub_nc_u32_e32 v87, v4, v87
	s_delay_alu instid0(VALU_DEP_4) | instskip(SKIP_1) | instid1(VALU_DEP_3)
	v_cndmask_b32_e64 v88, 0, v4, s0
	v_cmp_gt_u32_e64 s0, s1, v63
	v_add_nc_u32_e32 v4, v87, v4
	s_delay_alu instid0(VALU_DEP_3) | instskip(NEXT) | instid1(VALU_DEP_3)
	v_sub_nc_u32_e32 v67, v3, v88
	v_cndmask_b32_e64 v89, 0, v3, s0
	v_cmp_gt_u32_e64 s0, s1, v62
	s_delay_alu instid0(VALU_DEP_3) | instskip(NEXT) | instid1(VALU_DEP_3)
	v_add_nc_u32_e32 v3, v67, v3
	v_sub_nc_u32_e32 v88, v2, v89
	s_delay_alu instid0(VALU_DEP_3) | instskip(SKIP_1) | instid1(VALU_DEP_3)
	v_cndmask_b32_e64 v87, 0, v2, s0
	v_cmp_gt_u32_e64 s0, s1, v61
	v_add_nc_u32_e32 v2, v88, v2
	s_delay_alu instid0(VALU_DEP_3) | instskip(NEXT) | instid1(VALU_DEP_3)
	v_sub_nc_u32_e32 v87, v1, v87
	v_cndmask_b32_e64 v89, 0, v1, s0
	v_cmp_gt_u32_e64 s0, s1, v60
	s_delay_alu instid0(VALU_DEP_3) | instskip(NEXT) | instid1(VALU_DEP_3)
	v_add_nc_u32_e32 v1, v87, v1
	v_sub_nc_u32_e32 v67, v29, v89
	s_delay_alu instid0(VALU_DEP_3) | instskip(SKIP_1) | instid1(VALU_DEP_3)
	;; [unrolled: 11-line block ×3, first 2 shown]
	v_cndmask_b32_e64 v89, 0, v27, s0
	v_cmp_gt_u32_e64 s0, s1, v57
	v_add_nc_u32_e32 v27, v87, v27
	s_delay_alu instid0(VALU_DEP_3) | instskip(NEXT) | instid1(VALU_DEP_3)
	v_sub_nc_u32_e32 v67, v14, v89
	v_cndmask_b32_e64 v90, 0, v14, s0
	v_cmp_gt_u32_e64 s0, s1, v55
	s_delay_alu instid0(VALU_DEP_3) | instskip(NEXT) | instid1(VALU_DEP_3)
	v_add_nc_u32_e32 v14, v67, v14
	v_sub_nc_u32_e32 v88, v26, v90
	s_delay_alu instid0(VALU_DEP_3) | instskip(SKIP_1) | instid1(VALU_DEP_2)
	v_cndmask_b32_e64 v87, 0, v7, s0
	v_cmp_gt_u32_e64 s0, s1, v56
	v_sub_nc_u32_e32 v87, v6, v87
	s_delay_alu instid0(VALU_DEP_2) | instskip(SKIP_2) | instid1(VALU_DEP_3)
	v_cndmask_b32_e64 v67, 0, v26, s0
	v_cmp_gt_u32_e64 s0, s1, v54
	v_add_nc_u32_e32 v26, v88, v26
	v_sub_nc_u32_e32 v67, v7, v67
	s_delay_alu instid0(VALU_DEP_3) | instskip(SKIP_2) | instid1(VALU_DEP_3)
	v_cndmask_b32_e64 v88, 0, v6, s0
	v_add_nc_u32_e32 v6, v87, v6
	s_add_i32 s0, s4, s1
	v_add_nc_u32_e32 v7, v67, v7
	s_delay_alu instid0(VALU_DEP_3) | instskip(SKIP_2) | instid1(VALU_DEP_1)
	v_sub_nc_u32_e32 v88, v13, v88
	s_and_b32 s1, s0, 0x1fff
	s_cmp_lg_u32 s5, 0
	v_add_nc_u32_e32 v13, v88, v13
	s_cbranch_scc0 .LBB125_4
.LBB125_2:                              ; =>This Inner Loop Header: Depth=1
	v_cmp_gt_u32_e64 s0, s1, v34
	s_waitcnt vmcnt(31)
	v_mov_b32_e32 v67, v5
	s_waitcnt vmcnt(0)
	ds_store_b32 v25, v15
	s_waitcnt lgkmcnt(0)
	s_barrier
	s_and_b32 s6, vcc_lo, s0
	buffer_gl0_inv
	s_and_saveexec_b32 s0, s6
	s_cbranch_execz .LBB125_1
; %bb.3:                                ;   in Loop: Header=BB125_2 Depth=1
	ds_load_b32 v67, v66
	s_waitcnt lgkmcnt(0)
	v_sub_nc_u32_e32 v67, v5, v67
	s_branch .LBB125_1
.LBB125_4:
	v_lshlrev_b32_e32 v0, 2, v0
	s_add_u32 s0, s8, s2
	s_addc_u32 s1, s9, s3
	s_delay_alu instid0(VALU_DEP_1) | instskip(NEXT) | instid1(VALU_DEP_1)
	v_add_co_u32 v40, s2, s0, v0
	v_add_co_ci_u32_e64 v41, null, s1, 0, s2
	s_delay_alu instid0(VALU_DEP_2) | instskip(NEXT) | instid1(VALU_DEP_2)
	v_add_co_u32 v34, vcc_lo, 0x1000, v40
	v_add_co_ci_u32_e32 v35, vcc_lo, 0, v41, vcc_lo
	v_add_co_u32 v36, vcc_lo, v40, 0x2000
	v_add_co_ci_u32_e32 v37, vcc_lo, 0, v41, vcc_lo
	;; [unrolled: 2-line block ×3, first 2 shown]
	s_clause 0x7
	global_store_b32 v0, v5, s[0:1]
	global_store_b32 v0, v4, s[0:1] offset:1024
	global_store_b32 v0, v3, s[0:1] offset:2048
	global_store_b32 v0, v2, s[0:1] offset:3072
	global_store_b32 v[34:35], v29, off offset:1024
	global_store_b32 v[34:35], v28, off offset:2048
	;; [unrolled: 1-line block ×4, first 2 shown]
	v_add_co_u32 v2, vcc_lo, 0x3000, v40
	v_add_co_ci_u32_e32 v3, vcc_lo, 0, v41, vcc_lo
	v_add_co_u32 v4, vcc_lo, v40, 0x4000
	v_add_co_ci_u32_e32 v5, vcc_lo, 0, v41, vcc_lo
	;; [unrolled: 2-line block ×3, first 2 shown]
	s_clause 0x7
	global_store_b32 v[38:39], v7, off offset:2048
	global_store_b32 v[38:39], v6, off offset:3072
	;; [unrolled: 1-line block ×8, first 2 shown]
	v_add_co_u32 v2, vcc_lo, 0x5000, v40
	v_add_co_ci_u32_e32 v3, vcc_lo, 0, v41, vcc_lo
	v_add_co_u32 v6, vcc_lo, v40, 0x6000
	v_add_co_ci_u32_e32 v7, vcc_lo, 0, v41, vcc_lo
	;; [unrolled: 2-line block ×3, first 2 shown]
	s_clause 0x4
	global_store_b32 v[36:37], v14, off
	global_store_b32 v[4:5], v13, off offset:-4096
	global_store_b32 v[4:5], v12, off
	global_store_b32 v[6:7], v11, off offset:-4096
	global_store_b32 v[6:7], v10, off
	v_add_co_u32 v4, vcc_lo, 0x7000, v40
	v_add_co_ci_u32_e32 v5, vcc_lo, 0, v41, vcc_lo
	s_clause 0xa
	global_store_b32 v[2:3], v24, off offset:1024
	global_store_b32 v[2:3], v23, off offset:2048
	;; [unrolled: 1-line block ×6, first 2 shown]
	global_store_b32 v[4:5], v18, off
	global_store_b32 v[4:5], v17, off offset:1024
	global_store_b32 v[4:5], v16, off offset:2048
	global_store_b32 v[36:37], v1, off offset:-4096
	global_store_b32 v[4:5], v15, off offset:3072
	s_nop 0
	s_sendmsg sendmsg(MSG_DEALLOC_VGPRS)
	s_endpgm
	.section	.rodata,"a",@progbits
	.p2align	6, 0x0
	.amdhsa_kernel _Z6kernelI26subtract_left_partial_tileLj256ELj32ELb0EJPiS1_S1_jEEvDpT3_
		.amdhsa_group_segment_fixed_size 2048
		.amdhsa_private_segment_fixed_size 0
		.amdhsa_kernarg_size 28
		.amdhsa_user_sgpr_count 15
		.amdhsa_user_sgpr_dispatch_ptr 0
		.amdhsa_user_sgpr_queue_ptr 0
		.amdhsa_user_sgpr_kernarg_segment_ptr 1
		.amdhsa_user_sgpr_dispatch_id 0
		.amdhsa_user_sgpr_private_segment_size 0
		.amdhsa_wavefront_size32 1
		.amdhsa_uses_dynamic_stack 0
		.amdhsa_enable_private_segment 0
		.amdhsa_system_sgpr_workgroup_id_x 1
		.amdhsa_system_sgpr_workgroup_id_y 0
		.amdhsa_system_sgpr_workgroup_id_z 0
		.amdhsa_system_sgpr_workgroup_info 0
		.amdhsa_system_vgpr_workitem_id 0
		.amdhsa_next_free_vgpr 91
		.amdhsa_next_free_sgpr 16
		.amdhsa_reserve_vcc 1
		.amdhsa_float_round_mode_32 0
		.amdhsa_float_round_mode_16_64 0
		.amdhsa_float_denorm_mode_32 3
		.amdhsa_float_denorm_mode_16_64 3
		.amdhsa_dx10_clamp 1
		.amdhsa_ieee_mode 1
		.amdhsa_fp16_overflow 0
		.amdhsa_workgroup_processor_mode 1
		.amdhsa_memory_ordered 1
		.amdhsa_forward_progress 0
		.amdhsa_shared_vgpr_count 0
		.amdhsa_exception_fp_ieee_invalid_op 0
		.amdhsa_exception_fp_denorm_src 0
		.amdhsa_exception_fp_ieee_div_zero 0
		.amdhsa_exception_fp_ieee_overflow 0
		.amdhsa_exception_fp_ieee_underflow 0
		.amdhsa_exception_fp_ieee_inexact 0
		.amdhsa_exception_int_div_zero 0
	.end_amdhsa_kernel
	.section	.text._Z6kernelI26subtract_left_partial_tileLj256ELj32ELb0EJPiS1_S1_jEEvDpT3_,"axG",@progbits,_Z6kernelI26subtract_left_partial_tileLj256ELj32ELb0EJPiS1_S1_jEEvDpT3_,comdat
.Lfunc_end125:
	.size	_Z6kernelI26subtract_left_partial_tileLj256ELj32ELb0EJPiS1_S1_jEEvDpT3_, .Lfunc_end125-_Z6kernelI26subtract_left_partial_tileLj256ELj32ELb0EJPiS1_S1_jEEvDpT3_
                                        ; -- End function
	.section	.AMDGPU.csdata,"",@progbits
; Kernel info:
; codeLenInByte = 2316
; NumSgprs: 18
; NumVgprs: 91
; ScratchSize: 0
; MemoryBound: 0
; FloatMode: 240
; IeeeMode: 1
; LDSByteSize: 2048 bytes/workgroup (compile time only)
; SGPRBlocks: 2
; VGPRBlocks: 11
; NumSGPRsForWavesPerEU: 18
; NumVGPRsForWavesPerEU: 91
; Occupancy: 16
; WaveLimiterHint : 1
; COMPUTE_PGM_RSRC2:SCRATCH_EN: 0
; COMPUTE_PGM_RSRC2:USER_SGPR: 15
; COMPUTE_PGM_RSRC2:TRAP_HANDLER: 0
; COMPUTE_PGM_RSRC2:TGID_X_EN: 1
; COMPUTE_PGM_RSRC2:TGID_Y_EN: 0
; COMPUTE_PGM_RSRC2:TGID_Z_EN: 0
; COMPUTE_PGM_RSRC2:TIDIG_COMP_CNT: 0
	.section	.text._Z6kernelI26subtract_left_partial_tileLj256ELj1ELb0EJPfPiS1_jEEvDpT3_,"axG",@progbits,_Z6kernelI26subtract_left_partial_tileLj256ELj1ELb0EJPfPiS1_jEEvDpT3_,comdat
	.protected	_Z6kernelI26subtract_left_partial_tileLj256ELj1ELb0EJPfPiS1_jEEvDpT3_ ; -- Begin function _Z6kernelI26subtract_left_partial_tileLj256ELj1ELb0EJPfPiS1_jEEvDpT3_
	.globl	_Z6kernelI26subtract_left_partial_tileLj256ELj1ELb0EJPfPiS1_jEEvDpT3_
	.p2align	8
	.type	_Z6kernelI26subtract_left_partial_tileLj256ELj1ELb0EJPfPiS1_jEEvDpT3_,@function
_Z6kernelI26subtract_left_partial_tileLj256ELj1ELb0EJPfPiS1_jEEvDpT3_: ; @_Z6kernelI26subtract_left_partial_tileLj256ELj1ELb0EJPfPiS1_jEEvDpT3_
; %bb.0:
	s_clause 0x1
	s_load_b128 s[8:11], s[0:1], 0x0
	s_load_b64 s[4:5], s[0:1], 0x10
	s_lshl_b32 s12, s15, 8
	s_mov_b32 s13, 0
	v_lshlrev_b32_e32 v2, 2, v0
	s_lshl_b64 s[2:3], s[12:13], 2
	s_mov_b32 s6, s15
	s_mov_b32 s7, s13
	v_cmp_ne_u32_e32 vcc_lo, 0, v0
	s_waitcnt lgkmcnt(0)
	s_add_u32 s8, s8, s2
	s_addc_u32 s9, s9, s3
	global_load_b32 v1, v2, s[8:9]
	s_load_b32 s8, s[0:1], 0x18
	s_lshl_b64 s[0:1], s[6:7], 2
	s_delay_alu instid0(SALU_CYCLE_1)
	s_add_u32 s0, s10, s0
	s_addc_u32 s1, s11, s1
	s_load_b32 s1, s[0:1], 0x0
	s_waitcnt lgkmcnt(0)
	v_cvt_f32_u32_e32 v3, s8
	s_sub_i32 s7, 0, s8
	s_delay_alu instid0(VALU_DEP_1) | instskip(SKIP_2) | instid1(VALU_DEP_1)
	v_rcp_iflag_f32_e32 v3, v3
	s_waitcnt_depctr 0xfff
	v_mul_f32_e32 v3, 0x4f7ffffe, v3
	v_cvt_u32_f32_e32 v3, v3
	s_delay_alu instid0(VALU_DEP_1) | instskip(SKIP_1) | instid1(VALU_DEP_2)
	v_readfirstlane_b32 s6, v3
	v_add_nc_u32_e32 v3, -4, v2
	s_mul_i32 s7, s7, s6
	s_delay_alu instid0(SALU_CYCLE_1) | instskip(NEXT) | instid1(SALU_CYCLE_1)
	s_mul_hi_u32 s7, s6, s7
	s_add_i32 s6, s6, s7
	s_delay_alu instid0(SALU_CYCLE_1) | instskip(NEXT) | instid1(SALU_CYCLE_1)
	s_lshr_b32 s6, s6, 24
	s_mul_i32 s0, s6, s8
	s_add_i32 s7, s6, 1
	s_sub_i32 s0, 0x100, s0
	s_delay_alu instid0(SALU_CYCLE_1)
	s_sub_i32 s9, s0, s8
	s_cmp_ge_u32 s0, s8
	s_cselect_b32 s6, s7, s6
	s_cselect_b32 s0, s9, s0
	s_add_i32 s7, s6, 1
	s_cmp_ge_u32 s0, s8
	s_cselect_b32 s6, s7, s6
	s_max_u32 s7, s8, 1
	s_add_i32 s6, s6, 1
	s_branch .LBB126_2
	.p2align	6
.LBB126_1:                              ;   in Loop: Header=BB126_2 Depth=1
	s_or_b32 exec_lo, exec_lo, s0
	s_add_i32 s0, s6, s1
	s_delay_alu instid0(VALU_DEP_1)
	v_add_f32_e32 v1, v1, v4
	s_add_i32 s7, s7, -1
	s_and_b32 s1, s0, 0xff
	s_cmp_lg_u32 s7, 0
	s_barrier
	buffer_gl0_inv
	s_cbranch_scc0 .LBB126_4
.LBB126_2:                              ; =>This Inner Loop Header: Depth=1
	v_cmp_gt_u32_e64 s0, s1, v0
	s_waitcnt vmcnt(0)
	v_mov_b32_e32 v4, v1
	ds_store_b32 v2, v1
	s_waitcnt lgkmcnt(0)
	s_barrier
	s_and_b32 s8, vcc_lo, s0
	buffer_gl0_inv
	s_and_saveexec_b32 s0, s8
	s_cbranch_execz .LBB126_1
; %bb.3:                                ;   in Loop: Header=BB126_2 Depth=1
	ds_load_b32 v4, v3
	s_waitcnt lgkmcnt(0)
	v_sub_f32_e32 v4, v1, v4
	s_branch .LBB126_1
.LBB126_4:
	v_lshlrev_b32_e32 v0, 2, v0
	s_add_u32 s0, s4, s2
	s_addc_u32 s1, s5, s3
	global_store_b32 v0, v1, s[0:1]
	s_nop 0
	s_sendmsg sendmsg(MSG_DEALLOC_VGPRS)
	s_endpgm
	.section	.rodata,"a",@progbits
	.p2align	6, 0x0
	.amdhsa_kernel _Z6kernelI26subtract_left_partial_tileLj256ELj1ELb0EJPfPiS1_jEEvDpT3_
		.amdhsa_group_segment_fixed_size 2048
		.amdhsa_private_segment_fixed_size 0
		.amdhsa_kernarg_size 28
		.amdhsa_user_sgpr_count 15
		.amdhsa_user_sgpr_dispatch_ptr 0
		.amdhsa_user_sgpr_queue_ptr 0
		.amdhsa_user_sgpr_kernarg_segment_ptr 1
		.amdhsa_user_sgpr_dispatch_id 0
		.amdhsa_user_sgpr_private_segment_size 0
		.amdhsa_wavefront_size32 1
		.amdhsa_uses_dynamic_stack 0
		.amdhsa_enable_private_segment 0
		.amdhsa_system_sgpr_workgroup_id_x 1
		.amdhsa_system_sgpr_workgroup_id_y 0
		.amdhsa_system_sgpr_workgroup_id_z 0
		.amdhsa_system_sgpr_workgroup_info 0
		.amdhsa_system_vgpr_workitem_id 0
		.amdhsa_next_free_vgpr 5
		.amdhsa_next_free_sgpr 16
		.amdhsa_reserve_vcc 1
		.amdhsa_float_round_mode_32 0
		.amdhsa_float_round_mode_16_64 0
		.amdhsa_float_denorm_mode_32 3
		.amdhsa_float_denorm_mode_16_64 3
		.amdhsa_dx10_clamp 1
		.amdhsa_ieee_mode 1
		.amdhsa_fp16_overflow 0
		.amdhsa_workgroup_processor_mode 1
		.amdhsa_memory_ordered 1
		.amdhsa_forward_progress 0
		.amdhsa_shared_vgpr_count 0
		.amdhsa_exception_fp_ieee_invalid_op 0
		.amdhsa_exception_fp_denorm_src 0
		.amdhsa_exception_fp_ieee_div_zero 0
		.amdhsa_exception_fp_ieee_overflow 0
		.amdhsa_exception_fp_ieee_underflow 0
		.amdhsa_exception_fp_ieee_inexact 0
		.amdhsa_exception_int_div_zero 0
	.end_amdhsa_kernel
	.section	.text._Z6kernelI26subtract_left_partial_tileLj256ELj1ELb0EJPfPiS1_jEEvDpT3_,"axG",@progbits,_Z6kernelI26subtract_left_partial_tileLj256ELj1ELb0EJPfPiS1_jEEvDpT3_,comdat
.Lfunc_end126:
	.size	_Z6kernelI26subtract_left_partial_tileLj256ELj1ELb0EJPfPiS1_jEEvDpT3_, .Lfunc_end126-_Z6kernelI26subtract_left_partial_tileLj256ELj1ELb0EJPfPiS1_jEEvDpT3_
                                        ; -- End function
	.section	.AMDGPU.csdata,"",@progbits
; Kernel info:
; codeLenInByte = 384
; NumSgprs: 18
; NumVgprs: 5
; ScratchSize: 0
; MemoryBound: 0
; FloatMode: 240
; IeeeMode: 1
; LDSByteSize: 2048 bytes/workgroup (compile time only)
; SGPRBlocks: 2
; VGPRBlocks: 0
; NumSGPRsForWavesPerEU: 18
; NumVGPRsForWavesPerEU: 5
; Occupancy: 16
; WaveLimiterHint : 0
; COMPUTE_PGM_RSRC2:SCRATCH_EN: 0
; COMPUTE_PGM_RSRC2:USER_SGPR: 15
; COMPUTE_PGM_RSRC2:TRAP_HANDLER: 0
; COMPUTE_PGM_RSRC2:TGID_X_EN: 1
; COMPUTE_PGM_RSRC2:TGID_Y_EN: 0
; COMPUTE_PGM_RSRC2:TGID_Z_EN: 0
; COMPUTE_PGM_RSRC2:TIDIG_COMP_CNT: 0
	.section	.text._Z6kernelI26subtract_left_partial_tileLj256ELj3ELb0EJPfPiS1_jEEvDpT3_,"axG",@progbits,_Z6kernelI26subtract_left_partial_tileLj256ELj3ELb0EJPfPiS1_jEEvDpT3_,comdat
	.protected	_Z6kernelI26subtract_left_partial_tileLj256ELj3ELb0EJPfPiS1_jEEvDpT3_ ; -- Begin function _Z6kernelI26subtract_left_partial_tileLj256ELj3ELb0EJPfPiS1_jEEvDpT3_
	.globl	_Z6kernelI26subtract_left_partial_tileLj256ELj3ELb0EJPfPiS1_jEEvDpT3_
	.p2align	8
	.type	_Z6kernelI26subtract_left_partial_tileLj256ELj3ELb0EJPfPiS1_jEEvDpT3_,@function
_Z6kernelI26subtract_left_partial_tileLj256ELj3ELb0EJPfPiS1_jEEvDpT3_: ; @_Z6kernelI26subtract_left_partial_tileLj256ELj3ELb0EJPfPiS1_jEEvDpT3_
; %bb.0:
	s_clause 0x1
	s_load_b128 s[8:11], s[0:1], 0x0
	s_load_b64 s[4:5], s[0:1], 0x10
	s_mov_b32 s13, 0
	s_mul_i32 s12, s15, 0x300
	v_lshlrev_b32_e32 v4, 2, v0
	s_lshl_b64 s[2:3], s[12:13], 2
	s_mov_b32 s6, s15
	s_mov_b32 s7, s13
	v_mad_u32_u24 v6, v0, 3, 2
	v_mad_u32_u24 v7, v0, 3, 1
	v_cmp_ne_u32_e32 vcc_lo, 0, v0
	s_waitcnt lgkmcnt(0)
	s_add_u32 s8, s8, s2
	s_addc_u32 s9, s9, s3
	s_clause 0x2
	global_load_b32 v1, v4, s[8:9]
	global_load_b32 v2, v4, s[8:9] offset:1024
	global_load_b32 v3, v4, s[8:9] offset:2048
	s_load_b32 s8, s[0:1], 0x18
	s_lshl_b64 s[0:1], s[6:7], 2
	s_delay_alu instid0(SALU_CYCLE_1) | instskip(SKIP_4) | instid1(VALU_DEP_1)
	s_add_u32 s0, s10, s0
	s_addc_u32 s1, s11, s1
	s_waitcnt lgkmcnt(0)
	v_cvt_f32_u32_e32 v5, s8
	s_sub_i32 s7, 0, s8
	v_rcp_iflag_f32_e32 v5, v5
	s_waitcnt_depctr 0xfff
	v_dual_mul_f32 v5, 0x4f7ffffe, v5 :: v_dual_add_nc_u32 v8, -4, v4
	s_delay_alu instid0(VALU_DEP_1) | instskip(NEXT) | instid1(VALU_DEP_1)
	v_cvt_u32_f32_e32 v5, v5
	v_readfirstlane_b32 s6, v5
	v_mul_u32_u24_e32 v5, 3, v0
	s_delay_alu instid0(VALU_DEP_2) | instskip(NEXT) | instid1(SALU_CYCLE_1)
	s_mul_i32 s7, s7, s6
	s_mul_hi_u32 s7, s6, s7
	s_delay_alu instid0(SALU_CYCLE_1) | instskip(NEXT) | instid1(SALU_CYCLE_1)
	s_add_i32 s6, s6, s7
	s_mul_hi_u32 s7, s6, 0x300
	s_load_b32 s6, s[0:1], 0x0
	s_mul_i32 s9, s7, s8
	s_add_i32 s1, s7, 1
	s_sub_i32 s0, 0x300, s9
	s_delay_alu instid0(SALU_CYCLE_1)
	s_sub_i32 s9, s0, s8
	s_cmp_ge_u32 s0, s8
	s_cselect_b32 s1, s1, s7
	s_cselect_b32 s0, s9, s0
	s_add_i32 s7, s1, 1
	s_cmp_ge_u32 s0, s8
	s_cselect_b32 s7, s7, s1
	s_max_u32 s8, s8, 1
	s_add_i32 s7, s7, 1
	s_set_inst_prefetch_distance 0x1
	s_branch .LBB127_2
	.p2align	6
.LBB127_1:                              ;   in Loop: Header=BB127_2 Depth=1
	s_or_b32 exec_lo, exec_lo, s0
	s_add_i32 s0, s7, s6
	s_delay_alu instid0(VALU_DEP_1)
	v_dual_add_f32 v1, v1, v11 :: v_dual_add_f32 v2, v2, v10
	s_mul_hi_u32 s1, s0, 0xaaaaaaab
	v_add_f32_e32 v3, v3, v9
	s_lshr_b32 s1, s1, 9
	s_add_i32 s8, s8, -1
	s_mulk_i32 s1, 0x300
	s_delay_alu instid0(SALU_CYCLE_1)
	s_sub_i32 s6, s0, s1
	s_cmp_lg_u32 s8, 0
	s_barrier
	buffer_gl0_inv
	s_cbranch_scc0 .LBB127_4
.LBB127_2:                              ; =>This Inner Loop Header: Depth=1
	s_waitcnt vmcnt(0)
	v_dual_sub_f32 v9, v3, v2 :: v_dual_sub_f32 v10, v2, v1
	s_waitcnt lgkmcnt(0)
	v_cmp_gt_u32_e64 s1, s6, v6
	v_cmp_gt_u32_e64 s0, s6, v5
	v_mov_b32_e32 v11, v1
	ds_store_b32 v4, v3
	s_waitcnt lgkmcnt(0)
	v_cndmask_b32_e64 v9, v3, v9, s1
	v_cmp_gt_u32_e64 s1, s6, v7
	s_barrier
	buffer_gl0_inv
	v_cndmask_b32_e64 v10, v2, v10, s1
	s_and_b32 s1, vcc_lo, s0
	s_delay_alu instid0(SALU_CYCLE_1)
	s_and_saveexec_b32 s0, s1
	s_cbranch_execz .LBB127_1
; %bb.3:                                ;   in Loop: Header=BB127_2 Depth=1
	ds_load_b32 v11, v8
	s_waitcnt lgkmcnt(0)
	v_sub_f32_e32 v11, v1, v11
	s_branch .LBB127_1
.LBB127_4:
	s_set_inst_prefetch_distance 0x2
	v_lshlrev_b32_e32 v0, 2, v0
	s_add_u32 s0, s4, s2
	s_addc_u32 s1, s5, s3
	s_clause 0x2
	global_store_b32 v0, v1, s[0:1]
	global_store_b32 v0, v2, s[0:1] offset:1024
	global_store_b32 v0, v3, s[0:1] offset:2048
	s_nop 0
	s_sendmsg sendmsg(MSG_DEALLOC_VGPRS)
	s_endpgm
	.section	.rodata,"a",@progbits
	.p2align	6, 0x0
	.amdhsa_kernel _Z6kernelI26subtract_left_partial_tileLj256ELj3ELb0EJPfPiS1_jEEvDpT3_
		.amdhsa_group_segment_fixed_size 2048
		.amdhsa_private_segment_fixed_size 0
		.amdhsa_kernarg_size 28
		.amdhsa_user_sgpr_count 15
		.amdhsa_user_sgpr_dispatch_ptr 0
		.amdhsa_user_sgpr_queue_ptr 0
		.amdhsa_user_sgpr_kernarg_segment_ptr 1
		.amdhsa_user_sgpr_dispatch_id 0
		.amdhsa_user_sgpr_private_segment_size 0
		.amdhsa_wavefront_size32 1
		.amdhsa_uses_dynamic_stack 0
		.amdhsa_enable_private_segment 0
		.amdhsa_system_sgpr_workgroup_id_x 1
		.amdhsa_system_sgpr_workgroup_id_y 0
		.amdhsa_system_sgpr_workgroup_id_z 0
		.amdhsa_system_sgpr_workgroup_info 0
		.amdhsa_system_vgpr_workitem_id 0
		.amdhsa_next_free_vgpr 12
		.amdhsa_next_free_sgpr 16
		.amdhsa_reserve_vcc 1
		.amdhsa_float_round_mode_32 0
		.amdhsa_float_round_mode_16_64 0
		.amdhsa_float_denorm_mode_32 3
		.amdhsa_float_denorm_mode_16_64 3
		.amdhsa_dx10_clamp 1
		.amdhsa_ieee_mode 1
		.amdhsa_fp16_overflow 0
		.amdhsa_workgroup_processor_mode 1
		.amdhsa_memory_ordered 1
		.amdhsa_forward_progress 0
		.amdhsa_shared_vgpr_count 0
		.amdhsa_exception_fp_ieee_invalid_op 0
		.amdhsa_exception_fp_denorm_src 0
		.amdhsa_exception_fp_ieee_div_zero 0
		.amdhsa_exception_fp_ieee_overflow 0
		.amdhsa_exception_fp_ieee_underflow 0
		.amdhsa_exception_fp_ieee_inexact 0
		.amdhsa_exception_int_div_zero 0
	.end_amdhsa_kernel
	.section	.text._Z6kernelI26subtract_left_partial_tileLj256ELj3ELb0EJPfPiS1_jEEvDpT3_,"axG",@progbits,_Z6kernelI26subtract_left_partial_tileLj256ELj3ELb0EJPfPiS1_jEEvDpT3_,comdat
.Lfunc_end127:
	.size	_Z6kernelI26subtract_left_partial_tileLj256ELj3ELb0EJPfPiS1_jEEvDpT3_, .Lfunc_end127-_Z6kernelI26subtract_left_partial_tileLj256ELj3ELb0EJPfPiS1_jEEvDpT3_
                                        ; -- End function
	.section	.AMDGPU.csdata,"",@progbits
; Kernel info:
; codeLenInByte = 528
; NumSgprs: 18
; NumVgprs: 12
; ScratchSize: 0
; MemoryBound: 0
; FloatMode: 240
; IeeeMode: 1
; LDSByteSize: 2048 bytes/workgroup (compile time only)
; SGPRBlocks: 2
; VGPRBlocks: 1
; NumSGPRsForWavesPerEU: 18
; NumVGPRsForWavesPerEU: 12
; Occupancy: 16
; WaveLimiterHint : 1
; COMPUTE_PGM_RSRC2:SCRATCH_EN: 0
; COMPUTE_PGM_RSRC2:USER_SGPR: 15
; COMPUTE_PGM_RSRC2:TRAP_HANDLER: 0
; COMPUTE_PGM_RSRC2:TGID_X_EN: 1
; COMPUTE_PGM_RSRC2:TGID_Y_EN: 0
; COMPUTE_PGM_RSRC2:TGID_Z_EN: 0
; COMPUTE_PGM_RSRC2:TIDIG_COMP_CNT: 0
	.section	.text._Z6kernelI26subtract_left_partial_tileLj256ELj4ELb0EJPfPiS1_jEEvDpT3_,"axG",@progbits,_Z6kernelI26subtract_left_partial_tileLj256ELj4ELb0EJPfPiS1_jEEvDpT3_,comdat
	.protected	_Z6kernelI26subtract_left_partial_tileLj256ELj4ELb0EJPfPiS1_jEEvDpT3_ ; -- Begin function _Z6kernelI26subtract_left_partial_tileLj256ELj4ELb0EJPfPiS1_jEEvDpT3_
	.globl	_Z6kernelI26subtract_left_partial_tileLj256ELj4ELb0EJPfPiS1_jEEvDpT3_
	.p2align	8
	.type	_Z6kernelI26subtract_left_partial_tileLj256ELj4ELb0EJPfPiS1_jEEvDpT3_,@function
_Z6kernelI26subtract_left_partial_tileLj256ELj4ELb0EJPfPiS1_jEEvDpT3_: ; @_Z6kernelI26subtract_left_partial_tileLj256ELj4ELb0EJPfPiS1_jEEvDpT3_
; %bb.0:
	s_clause 0x1
	s_load_b128 s[8:11], s[0:1], 0x0
	s_load_b64 s[4:5], s[0:1], 0x10
	s_mov_b32 s13, 0
	s_lshl_b32 s12, s15, 10
	v_lshlrev_b32_e32 v5, 2, v0
	s_lshl_b64 s[2:3], s[12:13], 2
	s_mov_b32 s6, s15
	s_mov_b32 s7, s13
	v_cmp_ne_u32_e32 vcc_lo, 0, v0
	s_waitcnt lgkmcnt(0)
	s_add_u32 s8, s8, s2
	s_addc_u32 s9, s9, s3
	s_clause 0x3
	global_load_b32 v1, v5, s[8:9]
	global_load_b32 v2, v5, s[8:9] offset:1024
	global_load_b32 v3, v5, s[8:9] offset:2048
	;; [unrolled: 1-line block ×3, first 2 shown]
	s_load_b32 s8, s[0:1], 0x18
	s_lshl_b64 s[0:1], s[6:7], 2
	s_delay_alu instid0(SALU_CYCLE_1) | instskip(SKIP_4) | instid1(VALU_DEP_1)
	s_add_u32 s0, s10, s0
	s_addc_u32 s1, s11, s1
	s_waitcnt lgkmcnt(0)
	v_cvt_f32_u32_e32 v6, s8
	s_sub_i32 s7, 0, s8
	v_rcp_iflag_f32_e32 v6, v6
	s_waitcnt_depctr 0xfff
	v_mul_f32_e32 v6, 0x4f7ffffe, v6
	v_or_b32_e32 v7, 2, v5
	v_or_b32_e32 v8, 1, v5
	v_add_nc_u32_e32 v9, -4, v5
	s_delay_alu instid0(VALU_DEP_4) | instskip(NEXT) | instid1(VALU_DEP_1)
	v_cvt_u32_f32_e32 v6, v6
	v_readfirstlane_b32 s6, v6
	v_or_b32_e32 v6, 3, v5
	s_delay_alu instid0(VALU_DEP_2) | instskip(NEXT) | instid1(SALU_CYCLE_1)
	s_mul_i32 s7, s7, s6
	s_mul_hi_u32 s7, s6, s7
	s_delay_alu instid0(SALU_CYCLE_1) | instskip(NEXT) | instid1(SALU_CYCLE_1)
	s_add_i32 s6, s6, s7
	s_lshr_b32 s7, s6, 22
	s_load_b32 s6, s[0:1], 0x0
	s_mul_i32 s9, s7, s8
	s_add_i32 s1, s7, 1
	s_sub_i32 s0, 0x400, s9
	s_delay_alu instid0(SALU_CYCLE_1)
	s_sub_i32 s9, s0, s8
	s_cmp_ge_u32 s0, s8
	s_cselect_b32 s1, s1, s7
	s_cselect_b32 s0, s9, s0
	s_add_i32 s7, s1, 1
	s_cmp_ge_u32 s0, s8
	s_cselect_b32 s7, s7, s1
	s_max_u32 s8, s8, 1
	s_add_i32 s7, s7, 1
	s_set_inst_prefetch_distance 0x1
	s_branch .LBB128_2
	.p2align	6
.LBB128_1:                              ;   in Loop: Header=BB128_2 Depth=1
	s_or_b32 exec_lo, exec_lo, s0
	s_delay_alu instid0(VALU_DEP_1)
	v_dual_add_f32 v1, v1, v13 :: v_dual_add_f32 v2, v2, v12
	v_dual_add_f32 v3, v3, v11 :: v_dual_add_f32 v4, v4, v10
	s_add_i32 s0, s7, s6
	s_add_i32 s8, s8, -1
	s_and_b32 s6, s0, 0x3ff
	s_cmp_lg_u32 s8, 0
	s_barrier
	buffer_gl0_inv
	s_cbranch_scc0 .LBB128_4
.LBB128_2:                              ; =>This Inner Loop Header: Depth=1
	s_waitcnt vmcnt(0)
	v_dual_sub_f32 v10, v4, v3 :: v_dual_sub_f32 v11, v3, v2
	s_waitcnt lgkmcnt(0)
	v_cmp_gt_u32_e64 s0, s6, v6
	v_dual_sub_f32 v12, v2, v1 :: v_dual_mov_b32 v13, v1
	v_cmp_gt_u32_e64 s1, s6, v8
	ds_store_b32 v5, v4
	v_cndmask_b32_e64 v10, v4, v10, s0
	v_cmp_gt_u32_e64 s0, s6, v7
	s_waitcnt lgkmcnt(0)
	v_cndmask_b32_e64 v12, v2, v12, s1
	s_barrier
	buffer_gl0_inv
	v_cndmask_b32_e64 v11, v3, v11, s0
	v_cmp_gt_u32_e64 s0, s6, v5
	s_delay_alu instid0(VALU_DEP_1) | instskip(NEXT) | instid1(SALU_CYCLE_1)
	s_and_b32 s1, vcc_lo, s0
	s_and_saveexec_b32 s0, s1
	s_cbranch_execz .LBB128_1
; %bb.3:                                ;   in Loop: Header=BB128_2 Depth=1
	ds_load_b32 v13, v9
	s_waitcnt lgkmcnt(0)
	v_sub_f32_e32 v13, v1, v13
	s_branch .LBB128_1
.LBB128_4:
	s_set_inst_prefetch_distance 0x2
	v_lshlrev_b32_e32 v0, 2, v0
	s_add_u32 s0, s4, s2
	s_addc_u32 s1, s5, s3
	s_clause 0x3
	global_store_b32 v0, v1, s[0:1]
	global_store_b32 v0, v2, s[0:1] offset:1024
	global_store_b32 v0, v3, s[0:1] offset:2048
	;; [unrolled: 1-line block ×3, first 2 shown]
	s_nop 0
	s_sendmsg sendmsg(MSG_DEALLOC_VGPRS)
	s_endpgm
	.section	.rodata,"a",@progbits
	.p2align	6, 0x0
	.amdhsa_kernel _Z6kernelI26subtract_left_partial_tileLj256ELj4ELb0EJPfPiS1_jEEvDpT3_
		.amdhsa_group_segment_fixed_size 2048
		.amdhsa_private_segment_fixed_size 0
		.amdhsa_kernarg_size 28
		.amdhsa_user_sgpr_count 15
		.amdhsa_user_sgpr_dispatch_ptr 0
		.amdhsa_user_sgpr_queue_ptr 0
		.amdhsa_user_sgpr_kernarg_segment_ptr 1
		.amdhsa_user_sgpr_dispatch_id 0
		.amdhsa_user_sgpr_private_segment_size 0
		.amdhsa_wavefront_size32 1
		.amdhsa_uses_dynamic_stack 0
		.amdhsa_enable_private_segment 0
		.amdhsa_system_sgpr_workgroup_id_x 1
		.amdhsa_system_sgpr_workgroup_id_y 0
		.amdhsa_system_sgpr_workgroup_id_z 0
		.amdhsa_system_sgpr_workgroup_info 0
		.amdhsa_system_vgpr_workitem_id 0
		.amdhsa_next_free_vgpr 14
		.amdhsa_next_free_sgpr 16
		.amdhsa_reserve_vcc 1
		.amdhsa_float_round_mode_32 0
		.amdhsa_float_round_mode_16_64 0
		.amdhsa_float_denorm_mode_32 3
		.amdhsa_float_denorm_mode_16_64 3
		.amdhsa_dx10_clamp 1
		.amdhsa_ieee_mode 1
		.amdhsa_fp16_overflow 0
		.amdhsa_workgroup_processor_mode 1
		.amdhsa_memory_ordered 1
		.amdhsa_forward_progress 0
		.amdhsa_shared_vgpr_count 0
		.amdhsa_exception_fp_ieee_invalid_op 0
		.amdhsa_exception_fp_denorm_src 0
		.amdhsa_exception_fp_ieee_div_zero 0
		.amdhsa_exception_fp_ieee_overflow 0
		.amdhsa_exception_fp_ieee_underflow 0
		.amdhsa_exception_fp_ieee_inexact 0
		.amdhsa_exception_int_div_zero 0
	.end_amdhsa_kernel
	.section	.text._Z6kernelI26subtract_left_partial_tileLj256ELj4ELb0EJPfPiS1_jEEvDpT3_,"axG",@progbits,_Z6kernelI26subtract_left_partial_tileLj256ELj4ELb0EJPfPiS1_jEEvDpT3_,comdat
.Lfunc_end128:
	.size	_Z6kernelI26subtract_left_partial_tileLj256ELj4ELb0EJPfPiS1_jEEvDpT3_, .Lfunc_end128-_Z6kernelI26subtract_left_partial_tileLj256ELj4ELb0EJPfPiS1_jEEvDpT3_
                                        ; -- End function
	.section	.AMDGPU.csdata,"",@progbits
; Kernel info:
; codeLenInByte = 536
; NumSgprs: 18
; NumVgprs: 14
; ScratchSize: 0
; MemoryBound: 0
; FloatMode: 240
; IeeeMode: 1
; LDSByteSize: 2048 bytes/workgroup (compile time only)
; SGPRBlocks: 2
; VGPRBlocks: 1
; NumSGPRsForWavesPerEU: 18
; NumVGPRsForWavesPerEU: 14
; Occupancy: 16
; WaveLimiterHint : 1
; COMPUTE_PGM_RSRC2:SCRATCH_EN: 0
; COMPUTE_PGM_RSRC2:USER_SGPR: 15
; COMPUTE_PGM_RSRC2:TRAP_HANDLER: 0
; COMPUTE_PGM_RSRC2:TGID_X_EN: 1
; COMPUTE_PGM_RSRC2:TGID_Y_EN: 0
; COMPUTE_PGM_RSRC2:TGID_Z_EN: 0
; COMPUTE_PGM_RSRC2:TIDIG_COMP_CNT: 0
	.section	.text._Z6kernelI26subtract_left_partial_tileLj256ELj8ELb0EJPfPiS1_jEEvDpT3_,"axG",@progbits,_Z6kernelI26subtract_left_partial_tileLj256ELj8ELb0EJPfPiS1_jEEvDpT3_,comdat
	.protected	_Z6kernelI26subtract_left_partial_tileLj256ELj8ELb0EJPfPiS1_jEEvDpT3_ ; -- Begin function _Z6kernelI26subtract_left_partial_tileLj256ELj8ELb0EJPfPiS1_jEEvDpT3_
	.globl	_Z6kernelI26subtract_left_partial_tileLj256ELj8ELb0EJPfPiS1_jEEvDpT3_
	.p2align	8
	.type	_Z6kernelI26subtract_left_partial_tileLj256ELj8ELb0EJPfPiS1_jEEvDpT3_,@function
_Z6kernelI26subtract_left_partial_tileLj256ELj8ELb0EJPfPiS1_jEEvDpT3_: ; @_Z6kernelI26subtract_left_partial_tileLj256ELj8ELb0EJPfPiS1_jEEvDpT3_
; %bb.0:
	s_clause 0x1
	s_load_b128 s[4:7], s[0:1], 0x0
	s_load_b64 s[8:9], s[0:1], 0x10
	s_mov_b32 s13, 0
	s_lshl_b32 s12, s15, 11
	v_lshlrev_b32_e32 v9, 2, v0
	s_lshl_b64 s[2:3], s[12:13], 2
	s_mov_b32 s10, s15
	s_waitcnt lgkmcnt(0)
	s_add_u32 s4, s4, s2
	s_addc_u32 s5, s5, s3
	v_add_co_u32 v1, s11, s4, v9
	s_delay_alu instid0(VALU_DEP_1) | instskip(SKIP_1) | instid1(VALU_DEP_2)
	v_add_co_ci_u32_e64 v2, null, s5, 0, s11
	s_mov_b32 s11, s13
	v_add_co_u32 v10, vcc_lo, 0x1000, v1
	s_delay_alu instid0(VALU_DEP_2)
	v_add_co_ci_u32_e32 v11, vcc_lo, 0, v2, vcc_lo
	s_clause 0x7
	global_load_b32 v1, v9, s[4:5]
	global_load_b32 v2, v9, s[4:5] offset:1024
	global_load_b32 v3, v9, s[4:5] offset:2048
	;; [unrolled: 1-line block ×3, first 2 shown]
	global_load_b32 v5, v[10:11], off
	global_load_b32 v6, v[10:11], off offset:1024
	global_load_b32 v7, v[10:11], off offset:2048
	;; [unrolled: 1-line block ×3, first 2 shown]
	s_load_b32 s5, s[0:1], 0x18
	s_lshl_b64 s[0:1], s[10:11], 2
	v_cmp_ne_u32_e32 vcc_lo, 0, v0
	s_add_u32 s0, s6, s0
	s_addc_u32 s1, s7, s1
	s_load_b32 s1, s[0:1], 0x0
	s_waitcnt lgkmcnt(0)
	v_cvt_f32_u32_e32 v10, s5
	s_sub_i32 s6, 0, s5
	s_delay_alu instid0(VALU_DEP_1) | instskip(SKIP_3) | instid1(VALU_DEP_2)
	v_rcp_iflag_f32_e32 v10, v10
	s_waitcnt_depctr 0xfff
	v_mul_f32_e32 v10, 0x4f7ffffe, v10
	v_add_nc_u32_e32 v18, -4, v9
	v_cvt_u32_f32_e32 v10, v10
	s_delay_alu instid0(VALU_DEP_1) | instskip(SKIP_1) | instid1(VALU_DEP_2)
	v_readfirstlane_b32 s4, v10
	v_lshlrev_b32_e32 v10, 3, v0
	s_mul_i32 s6, s6, s4
	s_delay_alu instid0(VALU_DEP_1)
	v_or_b32_e32 v11, 7, v10
	s_mul_hi_u32 s6, s4, s6
	v_or_b32_e32 v12, 6, v10
	s_add_i32 s4, s4, s6
	v_or_b32_e32 v13, 5, v10
	s_lshr_b32 s4, s4, 21
	v_or_b32_e32 v14, 4, v10
	s_mul_i32 s6, s4, s5
	s_add_i32 s7, s4, 1
	s_sub_i32 s6, 0x800, s6
	v_or_b32_e32 v15, 3, v10
	s_sub_i32 s10, s6, s5
	s_cmp_ge_u32 s6, s5
	v_or_b32_e32 v16, 2, v10
	s_cselect_b32 s0, s7, s4
	s_cselect_b32 s4, s10, s6
	s_add_i32 s6, s0, 1
	s_cmp_ge_u32 s4, s5
	v_or_b32_e32 v17, 1, v10
	s_cselect_b32 s4, s6, s0
	s_max_u32 s5, s5, 1
	s_add_i32 s4, s4, 1
	s_branch .LBB129_2
.LBB129_1:                              ;   in Loop: Header=BB129_2 Depth=1
	s_or_b32 exec_lo, exec_lo, s0
	v_dual_sub_f32 v20, v8, v7 :: v_dual_sub_f32 v21, v7, v6
	v_cmp_gt_u32_e64 s0, s1, v11
	v_dual_sub_f32 v22, v6, v5 :: v_dual_sub_f32 v23, v4, v3
	v_dual_sub_f32 v24, v5, v4 :: v_dual_sub_f32 v25, v2, v1
	s_delay_alu instid0(VALU_DEP_3) | instskip(SKIP_3) | instid1(VALU_DEP_3)
	v_cndmask_b32_e64 v20, v8, v20, s0
	v_cmp_gt_u32_e64 s0, s1, v12
	v_dual_sub_f32 v26, v3, v2 :: v_dual_add_f32 v1, v1, v19
	s_add_i32 s5, s5, -1
	v_add_f32_e32 v8, v8, v20
	s_delay_alu instid0(VALU_DEP_3)
	v_cndmask_b32_e64 v21, v7, v21, s0
	v_cmp_gt_u32_e64 s0, s1, v13
	s_barrier
	buffer_gl0_inv
	v_add_f32_e32 v7, v7, v21
	v_cndmask_b32_e64 v22, v6, v22, s0
	v_cmp_gt_u32_e64 s0, s1, v15
	s_delay_alu instid0(VALU_DEP_2) | instskip(NEXT) | instid1(VALU_DEP_2)
	v_add_f32_e32 v6, v6, v22
	v_cndmask_b32_e64 v23, v4, v23, s0
	v_cmp_gt_u32_e64 s0, s1, v17
	s_delay_alu instid0(VALU_DEP_1) | instskip(SKIP_1) | instid1(VALU_DEP_1)
	v_cndmask_b32_e64 v25, v2, v25, s0
	v_cmp_gt_u32_e64 s0, s1, v16
	v_cndmask_b32_e64 v26, v3, v26, s0
	v_cmp_gt_u32_e64 s0, s1, v14
	s_delay_alu instid0(VALU_DEP_2) | instskip(NEXT) | instid1(VALU_DEP_2)
	v_dual_add_f32 v2, v2, v25 :: v_dual_add_f32 v3, v3, v26
	v_cndmask_b32_e64 v24, v5, v24, s0
	v_add_f32_e32 v4, v4, v23
	s_add_i32 s0, s4, s1
	s_delay_alu instid0(SALU_CYCLE_1) | instskip(NEXT) | instid1(VALU_DEP_2)
	s_and_b32 s1, s0, 0x7ff
	v_add_f32_e32 v5, v5, v24
	s_cmp_lg_u32 s5, 0
	s_cbranch_scc0 .LBB129_4
.LBB129_2:                              ; =>This Inner Loop Header: Depth=1
	v_cmp_gt_u32_e64 s0, s1, v10
	s_waitcnt vmcnt(7)
	v_mov_b32_e32 v19, v1
	s_waitcnt vmcnt(0)
	ds_store_b32 v9, v8
	s_waitcnt lgkmcnt(0)
	s_barrier
	s_and_b32 s6, vcc_lo, s0
	buffer_gl0_inv
	s_and_saveexec_b32 s0, s6
	s_cbranch_execz .LBB129_1
; %bb.3:                                ;   in Loop: Header=BB129_2 Depth=1
	ds_load_b32 v19, v18
	s_waitcnt lgkmcnt(0)
	v_sub_f32_e32 v19, v1, v19
	s_branch .LBB129_1
.LBB129_4:
	v_lshlrev_b32_e32 v0, 2, v0
	s_add_u32 s0, s8, s2
	s_addc_u32 s1, s9, s3
	s_delay_alu instid0(VALU_DEP_1) | instskip(NEXT) | instid1(VALU_DEP_1)
	v_add_co_u32 v9, s2, s0, v0
	v_add_co_ci_u32_e64 v10, null, s1, 0, s2
	s_delay_alu instid0(VALU_DEP_2) | instskip(NEXT) | instid1(VALU_DEP_2)
	v_add_co_u32 v9, vcc_lo, 0x1000, v9
	v_add_co_ci_u32_e32 v10, vcc_lo, 0, v10, vcc_lo
	s_clause 0x7
	global_store_b32 v0, v1, s[0:1]
	global_store_b32 v0, v2, s[0:1] offset:1024
	global_store_b32 v0, v3, s[0:1] offset:2048
	global_store_b32 v0, v4, s[0:1] offset:3072
	global_store_b32 v[9:10], v5, off
	global_store_b32 v[9:10], v6, off offset:1024
	global_store_b32 v[9:10], v7, off offset:2048
	;; [unrolled: 1-line block ×3, first 2 shown]
	s_nop 0
	s_sendmsg sendmsg(MSG_DEALLOC_VGPRS)
	s_endpgm
	.section	.rodata,"a",@progbits
	.p2align	6, 0x0
	.amdhsa_kernel _Z6kernelI26subtract_left_partial_tileLj256ELj8ELb0EJPfPiS1_jEEvDpT3_
		.amdhsa_group_segment_fixed_size 2048
		.amdhsa_private_segment_fixed_size 0
		.amdhsa_kernarg_size 28
		.amdhsa_user_sgpr_count 15
		.amdhsa_user_sgpr_dispatch_ptr 0
		.amdhsa_user_sgpr_queue_ptr 0
		.amdhsa_user_sgpr_kernarg_segment_ptr 1
		.amdhsa_user_sgpr_dispatch_id 0
		.amdhsa_user_sgpr_private_segment_size 0
		.amdhsa_wavefront_size32 1
		.amdhsa_uses_dynamic_stack 0
		.amdhsa_enable_private_segment 0
		.amdhsa_system_sgpr_workgroup_id_x 1
		.amdhsa_system_sgpr_workgroup_id_y 0
		.amdhsa_system_sgpr_workgroup_id_z 0
		.amdhsa_system_sgpr_workgroup_info 0
		.amdhsa_system_vgpr_workitem_id 0
		.amdhsa_next_free_vgpr 27
		.amdhsa_next_free_sgpr 16
		.amdhsa_reserve_vcc 1
		.amdhsa_float_round_mode_32 0
		.amdhsa_float_round_mode_16_64 0
		.amdhsa_float_denorm_mode_32 3
		.amdhsa_float_denorm_mode_16_64 3
		.amdhsa_dx10_clamp 1
		.amdhsa_ieee_mode 1
		.amdhsa_fp16_overflow 0
		.amdhsa_workgroup_processor_mode 1
		.amdhsa_memory_ordered 1
		.amdhsa_forward_progress 0
		.amdhsa_shared_vgpr_count 0
		.amdhsa_exception_fp_ieee_invalid_op 0
		.amdhsa_exception_fp_denorm_src 0
		.amdhsa_exception_fp_ieee_div_zero 0
		.amdhsa_exception_fp_ieee_overflow 0
		.amdhsa_exception_fp_ieee_underflow 0
		.amdhsa_exception_fp_ieee_inexact 0
		.amdhsa_exception_int_div_zero 0
	.end_amdhsa_kernel
	.section	.text._Z6kernelI26subtract_left_partial_tileLj256ELj8ELb0EJPfPiS1_jEEvDpT3_,"axG",@progbits,_Z6kernelI26subtract_left_partial_tileLj256ELj8ELb0EJPfPiS1_jEEvDpT3_,comdat
.Lfunc_end129:
	.size	_Z6kernelI26subtract_left_partial_tileLj256ELj8ELb0EJPfPiS1_jEEvDpT3_, .Lfunc_end129-_Z6kernelI26subtract_left_partial_tileLj256ELj8ELb0EJPfPiS1_jEEvDpT3_
                                        ; -- End function
	.section	.AMDGPU.csdata,"",@progbits
; Kernel info:
; codeLenInByte = 796
; NumSgprs: 18
; NumVgprs: 27
; ScratchSize: 0
; MemoryBound: 0
; FloatMode: 240
; IeeeMode: 1
; LDSByteSize: 2048 bytes/workgroup (compile time only)
; SGPRBlocks: 2
; VGPRBlocks: 3
; NumSGPRsForWavesPerEU: 18
; NumVGPRsForWavesPerEU: 27
; Occupancy: 16
; WaveLimiterHint : 1
; COMPUTE_PGM_RSRC2:SCRATCH_EN: 0
; COMPUTE_PGM_RSRC2:USER_SGPR: 15
; COMPUTE_PGM_RSRC2:TRAP_HANDLER: 0
; COMPUTE_PGM_RSRC2:TGID_X_EN: 1
; COMPUTE_PGM_RSRC2:TGID_Y_EN: 0
; COMPUTE_PGM_RSRC2:TGID_Z_EN: 0
; COMPUTE_PGM_RSRC2:TIDIG_COMP_CNT: 0
	.section	.text._Z6kernelI26subtract_left_partial_tileLj256ELj16ELb0EJPfPiS1_jEEvDpT3_,"axG",@progbits,_Z6kernelI26subtract_left_partial_tileLj256ELj16ELb0EJPfPiS1_jEEvDpT3_,comdat
	.protected	_Z6kernelI26subtract_left_partial_tileLj256ELj16ELb0EJPfPiS1_jEEvDpT3_ ; -- Begin function _Z6kernelI26subtract_left_partial_tileLj256ELj16ELb0EJPfPiS1_jEEvDpT3_
	.globl	_Z6kernelI26subtract_left_partial_tileLj256ELj16ELb0EJPfPiS1_jEEvDpT3_
	.p2align	8
	.type	_Z6kernelI26subtract_left_partial_tileLj256ELj16ELb0EJPfPiS1_jEEvDpT3_,@function
_Z6kernelI26subtract_left_partial_tileLj256ELj16ELb0EJPfPiS1_jEEvDpT3_: ; @_Z6kernelI26subtract_left_partial_tileLj256ELj16ELb0EJPfPiS1_jEEvDpT3_
; %bb.0:
	s_clause 0x1
	s_load_b128 s[4:7], s[0:1], 0x0
	s_load_b64 s[8:9], s[0:1], 0x10
	s_mov_b32 s13, 0
	s_lshl_b32 s12, s15, 12
	v_lshlrev_b32_e32 v17, 2, v0
	s_lshl_b64 s[2:3], s[12:13], 2
	s_mov_b32 s10, s15
	s_waitcnt lgkmcnt(0)
	s_add_u32 s4, s4, s2
	s_addc_u32 s5, s5, s3
	v_add_co_u32 v10, s11, s4, v17
	s_delay_alu instid0(VALU_DEP_1)
	v_add_co_ci_u32_e64 v11, null, s5, 0, s11
	s_clause 0x3
	global_load_b32 v4, v17, s[4:5]
	global_load_b32 v3, v17, s[4:5] offset:1024
	global_load_b32 v2, v17, s[4:5] offset:2048
	;; [unrolled: 1-line block ×3, first 2 shown]
	v_add_co_u32 v6, vcc_lo, 0x1000, v10
	v_add_co_ci_u32_e32 v7, vcc_lo, 0, v11, vcc_lo
	v_add_co_u32 v8, vcc_lo, v10, 0x2000
	v_add_co_ci_u32_e32 v9, vcc_lo, 0, v11, vcc_lo
	;; [unrolled: 2-line block ×3, first 2 shown]
	v_add_co_u32 v20, vcc_lo, 0x3000, v10
	s_clause 0x1
	global_load_b32 v5, v[8:9], off offset:-4096
	global_load_b32 v16, v[8:9], off
	v_add_co_ci_u32_e32 v21, vcc_lo, 0, v11, vcc_lo
	s_clause 0x9
	global_load_b32 v15, v[6:7], off offset:1024
	global_load_b32 v14, v[6:7], off offset:2048
	;; [unrolled: 1-line block ×6, first 2 shown]
	global_load_b32 v9, v[20:21], off
	global_load_b32 v8, v[20:21], off offset:1024
	global_load_b32 v7, v[20:21], off offset:2048
	;; [unrolled: 1-line block ×3, first 2 shown]
	s_load_b32 s5, s[0:1], 0x18
	s_mov_b32 s11, s13
	v_cmp_ne_u32_e32 vcc_lo, 0, v0
	s_lshl_b64 s[0:1], s[10:11], 2
	s_delay_alu instid0(SALU_CYCLE_1)
	s_add_u32 s0, s6, s0
	s_addc_u32 s1, s7, s1
	s_load_b32 s1, s[0:1], 0x0
	s_waitcnt lgkmcnt(0)
	v_cvt_f32_u32_e32 v18, s5
	s_sub_i32 s6, 0, s5
	s_delay_alu instid0(VALU_DEP_1) | instskip(SKIP_3) | instid1(VALU_DEP_2)
	v_rcp_iflag_f32_e32 v18, v18
	s_waitcnt_depctr 0xfff
	v_mul_f32_e32 v18, 0x4f7ffffe, v18
	v_add_nc_u32_e32 v34, -4, v17
	v_cvt_u32_f32_e32 v18, v18
	s_delay_alu instid0(VALU_DEP_1) | instskip(SKIP_1) | instid1(VALU_DEP_2)
	v_readfirstlane_b32 s4, v18
	v_lshlrev_b32_e32 v18, 4, v0
	s_mul_i32 s6, s6, s4
	s_delay_alu instid0(VALU_DEP_1)
	v_or_b32_e32 v19, 15, v18
	s_mul_hi_u32 s6, s4, s6
	v_or_b32_e32 v20, 14, v18
	s_add_i32 s4, s4, s6
	v_or_b32_e32 v21, 13, v18
	s_lshr_b32 s4, s4, 20
	v_or_b32_e32 v22, 12, v18
	s_mul_i32 s6, s4, s5
	s_add_i32 s7, s4, 1
	s_sub_i32 s6, 0x1000, s6
	v_or_b32_e32 v23, 11, v18
	s_sub_i32 s10, s6, s5
	s_cmp_ge_u32 s6, s5
	v_or_b32_e32 v24, 10, v18
	s_cselect_b32 s4, s7, s4
	s_cselect_b32 s6, s10, s6
	s_add_i32 s7, s4, 1
	s_cmp_ge_u32 s6, s5
	v_or_b32_e32 v25, 9, v18
	v_or_b32_e32 v26, 8, v18
	;; [unrolled: 1-line block ×9, first 2 shown]
	s_cselect_b32 s4, s7, s4
	s_max_u32 s5, s5, 1
	s_add_i32 s4, s4, 1
	s_branch .LBB130_2
.LBB130_1:                              ;   in Loop: Header=BB130_2 Depth=1
	s_or_b32 exec_lo, exec_lo, s0
	v_dual_sub_f32 v36, v6, v7 :: v_dual_sub_f32 v37, v7, v8
	v_cmp_gt_u32_e64 s0, s1, v19
	v_dual_sub_f32 v38, v8, v9 :: v_dual_sub_f32 v39, v9, v10
	v_dual_sub_f32 v40, v10, v11 :: v_dual_sub_f32 v41, v11, v12
	s_delay_alu instid0(VALU_DEP_3) | instskip(SKIP_3) | instid1(VALU_DEP_3)
	v_cndmask_b32_e64 v36, v6, v36, s0
	v_cmp_gt_u32_e64 s0, s1, v20
	v_dual_sub_f32 v42, v12, v16 :: v_dual_sub_f32 v45, v14, v15
	v_dual_sub_f32 v43, v16, v13 :: v_dual_sub_f32 v44, v13, v14
	v_cndmask_b32_e64 v37, v7, v37, s0
	v_cmp_gt_u32_e64 s0, s1, v21
	v_dual_sub_f32 v46, v15, v5 :: v_dual_sub_f32 v47, v1, v2
	v_dual_sub_f32 v48, v5, v1 :: v_dual_sub_f32 v49, v3, v4
	s_delay_alu instid0(VALU_DEP_3) | instskip(SKIP_3) | instid1(VALU_DEP_3)
	v_cndmask_b32_e64 v38, v8, v38, s0
	v_cmp_gt_u32_e64 s0, s1, v22
	v_dual_add_f32 v7, v7, v37 :: v_dual_add_f32 v6, v6, v36
	s_add_i32 s5, s5, -1
	v_add_f32_e32 v8, v8, v38
	s_delay_alu instid0(VALU_DEP_3)
	v_cndmask_b32_e64 v39, v9, v39, s0
	v_cmp_gt_u32_e64 s0, s1, v23
	s_barrier
	buffer_gl0_inv
	v_add_f32_e32 v9, v9, v39
	v_cndmask_b32_e64 v40, v10, v40, s0
	v_cmp_gt_u32_e64 s0, s1, v24
	s_delay_alu instid0(VALU_DEP_2) | instskip(NEXT) | instid1(VALU_DEP_2)
	v_add_f32_e32 v10, v10, v40
	v_cndmask_b32_e64 v41, v11, v41, s0
	v_cmp_gt_u32_e64 s0, s1, v25
	s_delay_alu instid0(VALU_DEP_2) | instskip(NEXT) | instid1(VALU_DEP_2)
	;; [unrolled: 4-line block ×8, first 2 shown]
	v_add_f32_e32 v1, v1, v47
	v_cndmask_b32_e64 v49, v3, v49, s0
	v_sub_f32_e32 v50, v2, v3
	v_cmp_gt_u32_e64 s0, s1, v32
	s_delay_alu instid0(VALU_DEP_3) | instskip(NEXT) | instid1(VALU_DEP_2)
	v_add_f32_e32 v3, v3, v49
	v_cndmask_b32_e64 v50, v2, v50, s0
	v_cmp_gt_u32_e64 s0, s1, v30
	s_delay_alu instid0(VALU_DEP_2) | instskip(NEXT) | instid1(VALU_DEP_2)
	v_add_f32_e32 v2, v2, v50
	v_cndmask_b32_e64 v48, v5, v48, s0
	v_add_f32_e32 v4, v4, v35
	s_add_i32 s0, s4, s1
	s_delay_alu instid0(SALU_CYCLE_1) | instskip(NEXT) | instid1(VALU_DEP_2)
	s_and_b32 s1, s0, 0xfff
	v_add_f32_e32 v5, v5, v48
	s_cmp_lg_u32 s5, 0
	s_cbranch_scc0 .LBB130_4
.LBB130_2:                              ; =>This Inner Loop Header: Depth=1
	v_cmp_gt_u32_e64 s0, s1, v18
	s_waitcnt vmcnt(15)
	v_mov_b32_e32 v35, v4
	s_waitcnt vmcnt(0)
	ds_store_b32 v17, v6
	s_waitcnt lgkmcnt(0)
	s_barrier
	s_and_b32 s6, vcc_lo, s0
	buffer_gl0_inv
	s_and_saveexec_b32 s0, s6
	s_cbranch_execz .LBB130_1
; %bb.3:                                ;   in Loop: Header=BB130_2 Depth=1
	ds_load_b32 v35, v34
	s_waitcnt lgkmcnt(0)
	v_sub_f32_e32 v35, v4, v35
	s_branch .LBB130_1
.LBB130_4:
	v_lshlrev_b32_e32 v0, 2, v0
	s_add_u32 s0, s8, s2
	s_addc_u32 s1, s9, s3
	s_delay_alu instid0(VALU_DEP_1) | instskip(NEXT) | instid1(VALU_DEP_1)
	v_add_co_u32 v23, s2, s0, v0
	v_add_co_ci_u32_e64 v24, null, s1, 0, s2
	s_delay_alu instid0(VALU_DEP_2) | instskip(NEXT) | instid1(VALU_DEP_2)
	v_add_co_u32 v17, vcc_lo, 0x1000, v23
	v_add_co_ci_u32_e32 v18, vcc_lo, 0, v24, vcc_lo
	v_add_co_u32 v19, vcc_lo, v23, 0x2000
	v_add_co_ci_u32_e32 v20, vcc_lo, 0, v24, vcc_lo
	;; [unrolled: 2-line block ×3, first 2 shown]
	v_add_co_u32 v23, vcc_lo, 0x3000, v23
	global_store_b32 v[19:20], v16, off
	v_add_co_ci_u32_e32 v24, vcc_lo, 0, v24, vcc_lo
	s_clause 0xe
	global_store_b32 v0, v4, s[0:1]
	global_store_b32 v0, v3, s[0:1] offset:1024
	global_store_b32 v0, v2, s[0:1] offset:2048
	;; [unrolled: 1-line block ×3, first 2 shown]
	global_store_b32 v[17:18], v15, off offset:1024
	global_store_b32 v[17:18], v14, off offset:2048
	;; [unrolled: 1-line block ×6, first 2 shown]
	global_store_b32 v[23:24], v9, off
	global_store_b32 v[23:24], v8, off offset:1024
	global_store_b32 v[23:24], v7, off offset:2048
	global_store_b32 v[19:20], v5, off offset:-4096
	global_store_b32 v[23:24], v6, off offset:3072
	s_nop 0
	s_sendmsg sendmsg(MSG_DEALLOC_VGPRS)
	s_endpgm
	.section	.rodata,"a",@progbits
	.p2align	6, 0x0
	.amdhsa_kernel _Z6kernelI26subtract_left_partial_tileLj256ELj16ELb0EJPfPiS1_jEEvDpT3_
		.amdhsa_group_segment_fixed_size 2048
		.amdhsa_private_segment_fixed_size 0
		.amdhsa_kernarg_size 28
		.amdhsa_user_sgpr_count 15
		.amdhsa_user_sgpr_dispatch_ptr 0
		.amdhsa_user_sgpr_queue_ptr 0
		.amdhsa_user_sgpr_kernarg_segment_ptr 1
		.amdhsa_user_sgpr_dispatch_id 0
		.amdhsa_user_sgpr_private_segment_size 0
		.amdhsa_wavefront_size32 1
		.amdhsa_uses_dynamic_stack 0
		.amdhsa_enable_private_segment 0
		.amdhsa_system_sgpr_workgroup_id_x 1
		.amdhsa_system_sgpr_workgroup_id_y 0
		.amdhsa_system_sgpr_workgroup_id_z 0
		.amdhsa_system_sgpr_workgroup_info 0
		.amdhsa_system_vgpr_workitem_id 0
		.amdhsa_next_free_vgpr 51
		.amdhsa_next_free_sgpr 16
		.amdhsa_reserve_vcc 1
		.amdhsa_float_round_mode_32 0
		.amdhsa_float_round_mode_16_64 0
		.amdhsa_float_denorm_mode_32 3
		.amdhsa_float_denorm_mode_16_64 3
		.amdhsa_dx10_clamp 1
		.amdhsa_ieee_mode 1
		.amdhsa_fp16_overflow 0
		.amdhsa_workgroup_processor_mode 1
		.amdhsa_memory_ordered 1
		.amdhsa_forward_progress 0
		.amdhsa_shared_vgpr_count 0
		.amdhsa_exception_fp_ieee_invalid_op 0
		.amdhsa_exception_fp_denorm_src 0
		.amdhsa_exception_fp_ieee_div_zero 0
		.amdhsa_exception_fp_ieee_overflow 0
		.amdhsa_exception_fp_ieee_underflow 0
		.amdhsa_exception_fp_ieee_inexact 0
		.amdhsa_exception_int_div_zero 0
	.end_amdhsa_kernel
	.section	.text._Z6kernelI26subtract_left_partial_tileLj256ELj16ELb0EJPfPiS1_jEEvDpT3_,"axG",@progbits,_Z6kernelI26subtract_left_partial_tileLj256ELj16ELb0EJPfPiS1_jEEvDpT3_,comdat
.Lfunc_end130:
	.size	_Z6kernelI26subtract_left_partial_tileLj256ELj16ELb0EJPfPiS1_jEEvDpT3_, .Lfunc_end130-_Z6kernelI26subtract_left_partial_tileLj256ELj16ELb0EJPfPiS1_jEEvDpT3_
                                        ; -- End function
	.section	.AMDGPU.csdata,"",@progbits
; Kernel info:
; codeLenInByte = 1284
; NumSgprs: 18
; NumVgprs: 51
; ScratchSize: 0
; MemoryBound: 0
; FloatMode: 240
; IeeeMode: 1
; LDSByteSize: 2048 bytes/workgroup (compile time only)
; SGPRBlocks: 2
; VGPRBlocks: 6
; NumSGPRsForWavesPerEU: 18
; NumVGPRsForWavesPerEU: 51
; Occupancy: 16
; WaveLimiterHint : 1
; COMPUTE_PGM_RSRC2:SCRATCH_EN: 0
; COMPUTE_PGM_RSRC2:USER_SGPR: 15
; COMPUTE_PGM_RSRC2:TRAP_HANDLER: 0
; COMPUTE_PGM_RSRC2:TGID_X_EN: 1
; COMPUTE_PGM_RSRC2:TGID_Y_EN: 0
; COMPUTE_PGM_RSRC2:TGID_Z_EN: 0
; COMPUTE_PGM_RSRC2:TIDIG_COMP_CNT: 0
	.section	.text._Z6kernelI26subtract_left_partial_tileLj256ELj32ELb0EJPfPiS1_jEEvDpT3_,"axG",@progbits,_Z6kernelI26subtract_left_partial_tileLj256ELj32ELb0EJPfPiS1_jEEvDpT3_,comdat
	.protected	_Z6kernelI26subtract_left_partial_tileLj256ELj32ELb0EJPfPiS1_jEEvDpT3_ ; -- Begin function _Z6kernelI26subtract_left_partial_tileLj256ELj32ELb0EJPfPiS1_jEEvDpT3_
	.globl	_Z6kernelI26subtract_left_partial_tileLj256ELj32ELb0EJPfPiS1_jEEvDpT3_
	.p2align	8
	.type	_Z6kernelI26subtract_left_partial_tileLj256ELj32ELb0EJPfPiS1_jEEvDpT3_,@function
_Z6kernelI26subtract_left_partial_tileLj256ELj32ELb0EJPfPiS1_jEEvDpT3_: ; @_Z6kernelI26subtract_left_partial_tileLj256ELj32ELb0EJPfPiS1_jEEvDpT3_
; %bb.0:
	s_clause 0x1
	s_load_b128 s[4:7], s[0:1], 0x0
	s_load_b64 s[8:9], s[0:1], 0x10
	s_mov_b32 s13, 0
	s_lshl_b32 s12, s15, 13
	v_lshlrev_b32_e32 v25, 2, v0
	s_lshl_b64 s[2:3], s[12:13], 2
	s_mov_b32 s10, s15
	s_waitcnt lgkmcnt(0)
	s_add_u32 s4, s4, s2
	s_addc_u32 s5, s5, s3
	v_add_co_u32 v30, s11, s4, v25
	s_delay_alu instid0(VALU_DEP_1)
	v_add_co_ci_u32_e64 v31, null, s5, 0, s11
	s_clause 0x3
	global_load_b32 v5, v25, s[4:5]
	global_load_b32 v4, v25, s[4:5] offset:1024
	global_load_b32 v3, v25, s[4:5] offset:2048
	;; [unrolled: 1-line block ×3, first 2 shown]
	v_add_co_u32 v6, vcc_lo, 0x1000, v30
	v_add_co_ci_u32_e32 v7, vcc_lo, 0, v31, vcc_lo
	v_add_co_u32 v10, vcc_lo, v30, 0x2000
	v_add_co_ci_u32_e32 v11, vcc_lo, 0, v31, vcc_lo
	;; [unrolled: 2-line block ×9, first 2 shown]
	v_add_co_u32 v36, vcc_lo, 0x7000, v30
	s_clause 0xd
	global_load_b32 v29, v[6:7], off offset:1024
	global_load_b32 v28, v[6:7], off offset:2048
	;; [unrolled: 1-line block ×8, first 2 shown]
	global_load_b32 v1, v[10:11], off offset:-4096
	global_load_b32 v14, v[10:11], off
	global_load_b32 v13, v[17:18], off offset:-4096
	global_load_b32 v12, v[17:18], off
	;; [unrolled: 2-line block ×3, first 2 shown]
	v_add_co_ci_u32_e32 v37, vcc_lo, 0, v31, vcc_lo
	s_clause 0xd
	global_load_b32 v33, v[15:16], off offset:3072
	global_load_b32 v32, v[19:20], off offset:1024
	;; [unrolled: 1-line block ×10, first 2 shown]
	global_load_b32 v18, v[36:37], off
	global_load_b32 v17, v[36:37], off offset:1024
	global_load_b32 v16, v[36:37], off offset:2048
	;; [unrolled: 1-line block ×3, first 2 shown]
	s_load_b32 s5, s[0:1], 0x18
	s_mov_b32 s11, s13
	v_cmp_ne_u32_e32 vcc_lo, 0, v0
	s_lshl_b64 s[0:1], s[10:11], 2
	s_delay_alu instid0(SALU_CYCLE_1)
	s_add_u32 s0, s6, s0
	s_addc_u32 s1, s7, s1
	s_load_b32 s1, s[0:1], 0x0
	s_waitcnt lgkmcnt(0)
	v_cvt_f32_u32_e32 v34, s5
	s_sub_i32 s6, 0, s5
	s_delay_alu instid0(VALU_DEP_1) | instskip(SKIP_3) | instid1(VALU_DEP_2)
	v_rcp_iflag_f32_e32 v34, v34
	s_waitcnt_depctr 0xfff
	v_mul_f32_e32 v34, 0x4f7ffffe, v34
	v_add_nc_u32_e32 v66, -4, v25
	v_cvt_u32_f32_e32 v34, v34
	s_delay_alu instid0(VALU_DEP_1) | instskip(SKIP_1) | instid1(VALU_DEP_2)
	v_readfirstlane_b32 s4, v34
	v_lshlrev_b32_e32 v34, 5, v0
	s_mul_i32 s6, s6, s4
	s_delay_alu instid0(VALU_DEP_1)
	v_or_b32_e32 v35, 31, v34
	s_mul_hi_u32 s6, s4, s6
	v_or_b32_e32 v36, 30, v34
	s_add_i32 s4, s4, s6
	v_or_b32_e32 v37, 29, v34
	s_lshr_b32 s4, s4, 19
	v_or_b32_e32 v38, 28, v34
	s_mul_i32 s6, s4, s5
	s_add_i32 s7, s4, 1
	s_sub_i32 s6, 0x2000, s6
	v_or_b32_e32 v39, 27, v34
	s_sub_i32 s10, s6, s5
	s_cmp_ge_u32 s6, s5
	v_or_b32_e32 v40, 26, v34
	s_cselect_b32 s4, s7, s4
	s_cselect_b32 s6, s10, s6
	s_add_i32 s7, s4, 1
	s_cmp_ge_u32 s6, s5
	v_or_b32_e32 v41, 25, v34
	v_or_b32_e32 v42, 24, v34
	;; [unrolled: 1-line block ×25, first 2 shown]
	s_cselect_b32 s4, s7, s4
	s_max_u32 s5, s5, 1
	s_add_i32 s4, s4, 1
	s_branch .LBB131_2
.LBB131_1:                              ;   in Loop: Header=BB131_2 Depth=1
	s_or_b32 exec_lo, exec_lo, s0
	v_dual_sub_f32 v68, v15, v16 :: v_dual_sub_f32 v69, v16, v17
	v_cmp_gt_u32_e64 s0, s1, v35
	v_dual_sub_f32 v70, v17, v18 :: v_dual_sub_f32 v71, v18, v19
	v_dual_sub_f32 v72, v19, v20 :: v_dual_sub_f32 v73, v20, v21
	s_delay_alu instid0(VALU_DEP_3) | instskip(SKIP_3) | instid1(VALU_DEP_3)
	v_cndmask_b32_e64 v68, v15, v68, s0
	v_cmp_gt_u32_e64 s0, s1, v36
	v_dual_sub_f32 v74, v21, v10 :: v_dual_sub_f32 v77, v23, v24
	v_dual_sub_f32 v75, v10, v22 :: v_dual_sub_f32 v78, v24, v11
	v_cndmask_b32_e64 v69, v16, v69, s0
	v_cmp_gt_u32_e64 s0, s1, v37
	v_dual_sub_f32 v76, v22, v23 :: v_dual_sub_f32 v79, v11, v30
	v_dual_sub_f32 v80, v30, v31 :: v_dual_sub_f32 v81, v31, v32
	s_delay_alu instid0(VALU_DEP_3) | instskip(SKIP_3) | instid1(VALU_DEP_3)
	v_cndmask_b32_e64 v70, v17, v70, s0
	v_cmp_gt_u32_e64 s0, s1, v38
	v_dual_sub_f32 v82, v32, v12 :: v_dual_sub_f32 v87, v14, v27
	v_dual_sub_f32 v83, v12, v33 :: v_dual_sub_f32 v84, v33, v8
	v_cndmask_b32_e64 v71, v18, v71, s0
	v_cmp_gt_u32_e64 s0, s1, v39
	v_dual_sub_f32 v86, v4, v5 :: v_dual_add_f32 v5, v5, v67
	v_dual_sub_f32 v85, v8, v9 :: v_dual_sub_f32 v88, v3, v4
	s_delay_alu instid0(VALU_DEP_3) | instskip(SKIP_3) | instid1(VALU_DEP_3)
	v_cndmask_b32_e64 v72, v19, v72, s0
	v_cmp_gt_u32_e64 s0, s1, v40
	v_dual_add_f32 v18, v18, v71 :: v_dual_add_f32 v15, v15, v68
	v_dual_add_f32 v17, v17, v70 :: v_dual_add_f32 v16, v16, v69
	v_cndmask_b32_e64 v73, v20, v73, s0
	v_cmp_gt_u32_e64 s0, s1, v41
	s_add_i32 s5, s5, -1
	s_barrier
	s_delay_alu instid0(VALU_DEP_2) | instskip(NEXT) | instid1(VALU_DEP_2)
	v_add_f32_e32 v20, v20, v73
	v_cndmask_b32_e64 v74, v21, v74, s0
	v_cmp_gt_u32_e64 s0, s1, v42
	v_add_f32_e32 v19, v19, v72
	buffer_gl0_inv
	v_add_f32_e32 v21, v21, v74
	v_cndmask_b32_e64 v75, v10, v75, s0
	v_cmp_gt_u32_e64 s0, s1, v43
	s_delay_alu instid0(VALU_DEP_2) | instskip(NEXT) | instid1(VALU_DEP_2)
	v_add_f32_e32 v10, v10, v75
	v_cndmask_b32_e64 v76, v22, v76, s0
	v_cmp_gt_u32_e64 s0, s1, v44
	s_delay_alu instid0(VALU_DEP_2) | instskip(NEXT) | instid1(VALU_DEP_2)
	;; [unrolled: 4-line block ×11, first 2 shown]
	v_dual_sub_f32 v67, v2, v3 :: v_dual_add_f32 v4, v4, v86
	v_cndmask_b32_e64 v88, v3, v88, s0
	v_cmp_gt_u32_e64 s0, s1, v63
	s_delay_alu instid0(VALU_DEP_2) | instskip(NEXT) | instid1(VALU_DEP_2)
	v_dual_sub_f32 v86, v1, v2 :: v_dual_add_f32 v3, v3, v88
	v_cndmask_b32_e64 v67, v2, v67, s0
	v_cmp_gt_u32_e64 s0, s1, v62
	v_sub_f32_e32 v88, v29, v1
	s_delay_alu instid0(VALU_DEP_3) | instskip(NEXT) | instid1(VALU_DEP_3)
	v_dual_add_f32 v2, v2, v67 :: v_dual_sub_f32 v67, v28, v29
	v_cndmask_b32_e64 v86, v1, v86, s0
	v_cmp_gt_u32_e64 s0, s1, v61
	s_delay_alu instid0(VALU_DEP_2) | instskip(NEXT) | instid1(VALU_DEP_2)
	v_dual_add_f32 v1, v1, v86 :: v_dual_sub_f32 v86, v27, v28
	v_cndmask_b32_e64 v88, v29, v88, s0
	v_cmp_gt_u32_e64 s0, s1, v60
	s_delay_alu instid0(VALU_DEP_2) | instskip(NEXT) | instid1(VALU_DEP_2)
	v_dual_add_f32 v29, v29, v88 :: v_dual_sub_f32 v88, v26, v14
	v_cndmask_b32_e64 v67, v28, v67, s0
	v_cmp_gt_u32_e64 s0, s1, v59
	s_delay_alu instid0(VALU_DEP_2) | instskip(NEXT) | instid1(VALU_DEP_2)
	v_dual_add_f32 v28, v28, v67 :: v_dual_sub_f32 v67, v9, v13
	v_cndmask_b32_e64 v86, v27, v86, s0
	v_cmp_gt_u32_e64 s0, s1, v58
	s_delay_alu instid0(VALU_DEP_2) | instskip(NEXT) | instid1(VALU_DEP_2)
	v_add_f32_e32 v27, v27, v86
	v_cndmask_b32_e64 v87, v14, v87, s0
	v_cmp_gt_u32_e64 s0, s1, v57
	v_sub_f32_e32 v89, v7, v26
	v_sub_f32_e32 v86, v13, v6
	s_delay_alu instid0(VALU_DEP_4) | instskip(SKIP_3) | instid1(VALU_DEP_2)
	v_add_f32_e32 v14, v14, v87
	v_sub_f32_e32 v87, v6, v7
	v_cndmask_b32_e64 v88, v26, v88, s0
	v_cmp_gt_u32_e64 s0, s1, v56
	v_add_f32_e32 v26, v26, v88
	s_delay_alu instid0(VALU_DEP_2) | instskip(SKIP_1) | instid1(VALU_DEP_1)
	v_cndmask_b32_e64 v88, v7, v89, s0
	v_cmp_gt_u32_e64 s0, s1, v55
	v_cndmask_b32_e64 v87, v6, v87, s0
	v_cmp_gt_u32_e64 s0, s1, v54
	s_delay_alu instid0(VALU_DEP_2) | instskip(NEXT) | instid1(VALU_DEP_2)
	v_dual_add_f32 v7, v7, v88 :: v_dual_add_f32 v6, v6, v87
	v_cndmask_b32_e64 v86, v13, v86, s0
	v_cmp_gt_u32_e64 s0, s1, v53
	s_delay_alu instid0(VALU_DEP_2) | instskip(NEXT) | instid1(VALU_DEP_2)
	v_add_f32_e32 v13, v13, v86
	v_cndmask_b32_e64 v67, v9, v67, s0
	v_cmp_gt_u32_e64 s0, s1, v52
	s_delay_alu instid0(VALU_DEP_1) | instskip(NEXT) | instid1(VALU_DEP_3)
	v_cndmask_b32_e64 v85, v8, v85, s0
	v_add_f32_e32 v9, v9, v67
	s_add_i32 s0, s4, s1
	s_delay_alu instid0(SALU_CYCLE_1) | instskip(NEXT) | instid1(VALU_DEP_2)
	s_and_b32 s1, s0, 0x1fff
	v_add_f32_e32 v8, v8, v85
	s_cmp_lg_u32 s5, 0
	s_cbranch_scc0 .LBB131_4
.LBB131_2:                              ; =>This Inner Loop Header: Depth=1
	v_cmp_gt_u32_e64 s0, s1, v34
	s_waitcnt vmcnt(31)
	v_mov_b32_e32 v67, v5
	s_waitcnt vmcnt(0)
	ds_store_b32 v25, v15
	s_waitcnt lgkmcnt(0)
	s_barrier
	s_and_b32 s6, vcc_lo, s0
	buffer_gl0_inv
	s_and_saveexec_b32 s0, s6
	s_cbranch_execz .LBB131_1
; %bb.3:                                ;   in Loop: Header=BB131_2 Depth=1
	ds_load_b32 v67, v66
	s_waitcnt lgkmcnt(0)
	v_sub_f32_e32 v67, v5, v67
	s_branch .LBB131_1
.LBB131_4:
	v_lshlrev_b32_e32 v0, 2, v0
	s_add_u32 s0, s8, s2
	s_addc_u32 s1, s9, s3
	s_delay_alu instid0(VALU_DEP_1) | instskip(NEXT) | instid1(VALU_DEP_1)
	v_add_co_u32 v40, s2, s0, v0
	v_add_co_ci_u32_e64 v41, null, s1, 0, s2
	s_delay_alu instid0(VALU_DEP_2) | instskip(NEXT) | instid1(VALU_DEP_2)
	v_add_co_u32 v34, vcc_lo, 0x1000, v40
	v_add_co_ci_u32_e32 v35, vcc_lo, 0, v41, vcc_lo
	v_add_co_u32 v36, vcc_lo, v40, 0x2000
	v_add_co_ci_u32_e32 v37, vcc_lo, 0, v41, vcc_lo
	v_add_co_u32 v38, vcc_lo, 0x2000, v40
	v_add_co_ci_u32_e32 v39, vcc_lo, 0, v41, vcc_lo
	s_clause 0x7
	global_store_b32 v0, v5, s[0:1]
	global_store_b32 v0, v4, s[0:1] offset:1024
	global_store_b32 v0, v3, s[0:1] offset:2048
	;; [unrolled: 1-line block ×3, first 2 shown]
	global_store_b32 v[34:35], v29, off offset:1024
	global_store_b32 v[34:35], v28, off offset:2048
	;; [unrolled: 1-line block ×4, first 2 shown]
	v_add_co_u32 v2, vcc_lo, 0x3000, v40
	v_add_co_ci_u32_e32 v3, vcc_lo, 0, v41, vcc_lo
	v_add_co_u32 v4, vcc_lo, v40, 0x4000
	v_add_co_ci_u32_e32 v5, vcc_lo, 0, v41, vcc_lo
	;; [unrolled: 2-line block ×3, first 2 shown]
	s_clause 0x7
	global_store_b32 v[38:39], v7, off offset:2048
	global_store_b32 v[38:39], v6, off offset:3072
	;; [unrolled: 1-line block ×8, first 2 shown]
	v_add_co_u32 v2, vcc_lo, 0x5000, v40
	v_add_co_ci_u32_e32 v3, vcc_lo, 0, v41, vcc_lo
	v_add_co_u32 v6, vcc_lo, v40, 0x6000
	v_add_co_ci_u32_e32 v7, vcc_lo, 0, v41, vcc_lo
	;; [unrolled: 2-line block ×3, first 2 shown]
	s_clause 0x4
	global_store_b32 v[36:37], v14, off
	global_store_b32 v[4:5], v13, off offset:-4096
	global_store_b32 v[4:5], v12, off
	global_store_b32 v[6:7], v11, off offset:-4096
	global_store_b32 v[6:7], v10, off
	v_add_co_u32 v4, vcc_lo, 0x7000, v40
	v_add_co_ci_u32_e32 v5, vcc_lo, 0, v41, vcc_lo
	s_clause 0xa
	global_store_b32 v[2:3], v24, off offset:1024
	global_store_b32 v[2:3], v23, off offset:2048
	;; [unrolled: 1-line block ×6, first 2 shown]
	global_store_b32 v[4:5], v18, off
	global_store_b32 v[4:5], v17, off offset:1024
	global_store_b32 v[4:5], v16, off offset:2048
	global_store_b32 v[36:37], v1, off offset:-4096
	global_store_b32 v[4:5], v15, off offset:3072
	s_nop 0
	s_sendmsg sendmsg(MSG_DEALLOC_VGPRS)
	s_endpgm
	.section	.rodata,"a",@progbits
	.p2align	6, 0x0
	.amdhsa_kernel _Z6kernelI26subtract_left_partial_tileLj256ELj32ELb0EJPfPiS1_jEEvDpT3_
		.amdhsa_group_segment_fixed_size 2048
		.amdhsa_private_segment_fixed_size 0
		.amdhsa_kernarg_size 28
		.amdhsa_user_sgpr_count 15
		.amdhsa_user_sgpr_dispatch_ptr 0
		.amdhsa_user_sgpr_queue_ptr 0
		.amdhsa_user_sgpr_kernarg_segment_ptr 1
		.amdhsa_user_sgpr_dispatch_id 0
		.amdhsa_user_sgpr_private_segment_size 0
		.amdhsa_wavefront_size32 1
		.amdhsa_uses_dynamic_stack 0
		.amdhsa_enable_private_segment 0
		.amdhsa_system_sgpr_workgroup_id_x 1
		.amdhsa_system_sgpr_workgroup_id_y 0
		.amdhsa_system_sgpr_workgroup_id_z 0
		.amdhsa_system_sgpr_workgroup_info 0
		.amdhsa_system_vgpr_workitem_id 0
		.amdhsa_next_free_vgpr 90
		.amdhsa_next_free_sgpr 16
		.amdhsa_reserve_vcc 1
		.amdhsa_float_round_mode_32 0
		.amdhsa_float_round_mode_16_64 0
		.amdhsa_float_denorm_mode_32 3
		.amdhsa_float_denorm_mode_16_64 3
		.amdhsa_dx10_clamp 1
		.amdhsa_ieee_mode 1
		.amdhsa_fp16_overflow 0
		.amdhsa_workgroup_processor_mode 1
		.amdhsa_memory_ordered 1
		.amdhsa_forward_progress 0
		.amdhsa_shared_vgpr_count 0
		.amdhsa_exception_fp_ieee_invalid_op 0
		.amdhsa_exception_fp_denorm_src 0
		.amdhsa_exception_fp_ieee_div_zero 0
		.amdhsa_exception_fp_ieee_overflow 0
		.amdhsa_exception_fp_ieee_underflow 0
		.amdhsa_exception_fp_ieee_inexact 0
		.amdhsa_exception_int_div_zero 0
	.end_amdhsa_kernel
	.section	.text._Z6kernelI26subtract_left_partial_tileLj256ELj32ELb0EJPfPiS1_jEEvDpT3_,"axG",@progbits,_Z6kernelI26subtract_left_partial_tileLj256ELj32ELb0EJPfPiS1_jEEvDpT3_,comdat
.Lfunc_end131:
	.size	_Z6kernelI26subtract_left_partial_tileLj256ELj32ELb0EJPfPiS1_jEEvDpT3_, .Lfunc_end131-_Z6kernelI26subtract_left_partial_tileLj256ELj32ELb0EJPfPiS1_jEEvDpT3_
                                        ; -- End function
	.section	.AMDGPU.csdata,"",@progbits
; Kernel info:
; codeLenInByte = 2244
; NumSgprs: 18
; NumVgprs: 90
; ScratchSize: 0
; MemoryBound: 0
; FloatMode: 240
; IeeeMode: 1
; LDSByteSize: 2048 bytes/workgroup (compile time only)
; SGPRBlocks: 2
; VGPRBlocks: 11
; NumSGPRsForWavesPerEU: 18
; NumVGPRsForWavesPerEU: 90
; Occupancy: 16
; WaveLimiterHint : 1
; COMPUTE_PGM_RSRC2:SCRATCH_EN: 0
; COMPUTE_PGM_RSRC2:USER_SGPR: 15
; COMPUTE_PGM_RSRC2:TRAP_HANDLER: 0
; COMPUTE_PGM_RSRC2:TGID_X_EN: 1
; COMPUTE_PGM_RSRC2:TGID_Y_EN: 0
; COMPUTE_PGM_RSRC2:TGID_Z_EN: 0
; COMPUTE_PGM_RSRC2:TIDIG_COMP_CNT: 0
	.section	.text._Z6kernelI26subtract_left_partial_tileLj256ELj1ELb0EJPaPiS1_jEEvDpT3_,"axG",@progbits,_Z6kernelI26subtract_left_partial_tileLj256ELj1ELb0EJPaPiS1_jEEvDpT3_,comdat
	.protected	_Z6kernelI26subtract_left_partial_tileLj256ELj1ELb0EJPaPiS1_jEEvDpT3_ ; -- Begin function _Z6kernelI26subtract_left_partial_tileLj256ELj1ELb0EJPaPiS1_jEEvDpT3_
	.globl	_Z6kernelI26subtract_left_partial_tileLj256ELj1ELb0EJPaPiS1_jEEvDpT3_
	.p2align	8
	.type	_Z6kernelI26subtract_left_partial_tileLj256ELj1ELb0EJPaPiS1_jEEvDpT3_,@function
_Z6kernelI26subtract_left_partial_tileLj256ELj1ELb0EJPaPiS1_jEEvDpT3_: ; @_Z6kernelI26subtract_left_partial_tileLj256ELj1ELb0EJPaPiS1_jEEvDpT3_
; %bb.0:
	s_clause 0x1
	s_load_b128 s[8:11], s[0:1], 0x0
	s_load_b64 s[2:3], s[0:1], 0x10
	s_lshl_b32 s4, s15, 8
	s_mov_b32 s6, s15
	s_mov_b32 s7, 0
	v_cmp_ne_u32_e32 vcc_lo, 0, v0
	s_waitcnt lgkmcnt(0)
	s_add_u32 s8, s8, s4
	s_addc_u32 s9, s9, 0
	global_load_u8 v1, v0, s[8:9]
	s_load_b32 s8, s[0:1], 0x18
	s_lshl_b64 s[0:1], s[6:7], 2
	s_delay_alu instid0(SALU_CYCLE_1)
	s_add_u32 s0, s10, s0
	s_addc_u32 s1, s11, s1
	s_load_b32 s1, s[0:1], 0x0
	s_waitcnt lgkmcnt(0)
	v_cvt_f32_u32_e32 v2, s8
	s_sub_i32 s6, 0, s8
	s_delay_alu instid0(VALU_DEP_1) | instskip(SKIP_2) | instid1(VALU_DEP_1)
	v_rcp_iflag_f32_e32 v2, v2
	s_waitcnt_depctr 0xfff
	v_mul_f32_e32 v2, 0x4f7ffffe, v2
	v_cvt_u32_f32_e32 v2, v2
	s_delay_alu instid0(VALU_DEP_1) | instskip(SKIP_1) | instid1(VALU_DEP_2)
	v_readfirstlane_b32 s5, v2
	v_add_nc_u32_e32 v2, -1, v0
	s_mul_i32 s6, s6, s5
	s_delay_alu instid0(SALU_CYCLE_1) | instskip(NEXT) | instid1(SALU_CYCLE_1)
	s_mul_hi_u32 s6, s5, s6
	s_add_i32 s5, s5, s6
	s_delay_alu instid0(SALU_CYCLE_1) | instskip(NEXT) | instid1(SALU_CYCLE_1)
	s_lshr_b32 s5, s5, 24
	s_mul_i32 s0, s5, s8
	s_add_i32 s6, s5, 1
	s_sub_i32 s0, 0x100, s0
	s_delay_alu instid0(SALU_CYCLE_1)
	s_sub_i32 s7, s0, s8
	s_cmp_ge_u32 s0, s8
	s_cselect_b32 s5, s6, s5
	s_cselect_b32 s0, s7, s0
	s_add_i32 s6, s5, 1
	s_cmp_ge_u32 s0, s8
	s_cselect_b32 s5, s6, s5
	s_max_u32 s6, s8, 1
	s_add_i32 s5, s5, 1
	s_branch .LBB132_2
	.p2align	6
.LBB132_1:                              ;   in Loop: Header=BB132_2 Depth=1
	s_or_b32 exec_lo, exec_lo, s0
	s_add_i32 s0, s5, s1
	s_delay_alu instid0(VALU_DEP_1)
	v_add_nc_u16 v1, v3, v1
	s_add_i32 s6, s6, -1
	s_and_b32 s1, s0, 0xff
	s_cmp_lg_u32 s6, 0
	s_barrier
	buffer_gl0_inv
	s_cbranch_scc0 .LBB132_4
.LBB132_2:                              ; =>This Inner Loop Header: Depth=1
	v_cmp_gt_u32_e64 s0, s1, v0
	s_waitcnt vmcnt(0)
	v_mov_b32_e32 v3, v1
	ds_store_b8 v0, v1
	s_waitcnt lgkmcnt(0)
	s_barrier
	s_and_b32 s7, vcc_lo, s0
	buffer_gl0_inv
	s_and_saveexec_b32 s0, s7
	s_cbranch_execz .LBB132_1
; %bb.3:                                ;   in Loop: Header=BB132_2 Depth=1
	ds_load_u8 v3, v2
	s_waitcnt lgkmcnt(0)
	v_sub_nc_u16 v3, v1, v3
	s_branch .LBB132_1
.LBB132_4:
	s_add_u32 s0, s2, s4
	s_addc_u32 s1, s3, 0
	v_add_co_u32 v2, s0, s0, v0
	s_delay_alu instid0(VALU_DEP_1)
	v_add_co_ci_u32_e64 v3, null, s1, 0, s0
	global_store_b8 v[2:3], v1, off
	s_nop 0
	s_sendmsg sendmsg(MSG_DEALLOC_VGPRS)
	s_endpgm
	.section	.rodata,"a",@progbits
	.p2align	6, 0x0
	.amdhsa_kernel _Z6kernelI26subtract_left_partial_tileLj256ELj1ELb0EJPaPiS1_jEEvDpT3_
		.amdhsa_group_segment_fixed_size 512
		.amdhsa_private_segment_fixed_size 0
		.amdhsa_kernarg_size 28
		.amdhsa_user_sgpr_count 15
		.amdhsa_user_sgpr_dispatch_ptr 0
		.amdhsa_user_sgpr_queue_ptr 0
		.amdhsa_user_sgpr_kernarg_segment_ptr 1
		.amdhsa_user_sgpr_dispatch_id 0
		.amdhsa_user_sgpr_private_segment_size 0
		.amdhsa_wavefront_size32 1
		.amdhsa_uses_dynamic_stack 0
		.amdhsa_enable_private_segment 0
		.amdhsa_system_sgpr_workgroup_id_x 1
		.amdhsa_system_sgpr_workgroup_id_y 0
		.amdhsa_system_sgpr_workgroup_id_z 0
		.amdhsa_system_sgpr_workgroup_info 0
		.amdhsa_system_vgpr_workitem_id 0
		.amdhsa_next_free_vgpr 4
		.amdhsa_next_free_sgpr 16
		.amdhsa_reserve_vcc 1
		.amdhsa_float_round_mode_32 0
		.amdhsa_float_round_mode_16_64 0
		.amdhsa_float_denorm_mode_32 3
		.amdhsa_float_denorm_mode_16_64 3
		.amdhsa_dx10_clamp 1
		.amdhsa_ieee_mode 1
		.amdhsa_fp16_overflow 0
		.amdhsa_workgroup_processor_mode 1
		.amdhsa_memory_ordered 1
		.amdhsa_forward_progress 0
		.amdhsa_shared_vgpr_count 0
		.amdhsa_exception_fp_ieee_invalid_op 0
		.amdhsa_exception_fp_denorm_src 0
		.amdhsa_exception_fp_ieee_div_zero 0
		.amdhsa_exception_fp_ieee_overflow 0
		.amdhsa_exception_fp_ieee_underflow 0
		.amdhsa_exception_fp_ieee_inexact 0
		.amdhsa_exception_int_div_zero 0
	.end_amdhsa_kernel
	.section	.text._Z6kernelI26subtract_left_partial_tileLj256ELj1ELb0EJPaPiS1_jEEvDpT3_,"axG",@progbits,_Z6kernelI26subtract_left_partial_tileLj256ELj1ELb0EJPaPiS1_jEEvDpT3_,comdat
.Lfunc_end132:
	.size	_Z6kernelI26subtract_left_partial_tileLj256ELj1ELb0EJPaPiS1_jEEvDpT3_, .Lfunc_end132-_Z6kernelI26subtract_left_partial_tileLj256ELj1ELb0EJPaPiS1_jEEvDpT3_
                                        ; -- End function
	.section	.AMDGPU.csdata,"",@progbits
; Kernel info:
; codeLenInByte = 396
; NumSgprs: 18
; NumVgprs: 4
; ScratchSize: 0
; MemoryBound: 0
; FloatMode: 240
; IeeeMode: 1
; LDSByteSize: 512 bytes/workgroup (compile time only)
; SGPRBlocks: 2
; VGPRBlocks: 0
; NumSGPRsForWavesPerEU: 18
; NumVGPRsForWavesPerEU: 4
; Occupancy: 16
; WaveLimiterHint : 0
; COMPUTE_PGM_RSRC2:SCRATCH_EN: 0
; COMPUTE_PGM_RSRC2:USER_SGPR: 15
; COMPUTE_PGM_RSRC2:TRAP_HANDLER: 0
; COMPUTE_PGM_RSRC2:TGID_X_EN: 1
; COMPUTE_PGM_RSRC2:TGID_Y_EN: 0
; COMPUTE_PGM_RSRC2:TGID_Z_EN: 0
; COMPUTE_PGM_RSRC2:TIDIG_COMP_CNT: 0
	.section	.text._Z6kernelI26subtract_left_partial_tileLj256ELj3ELb0EJPaPiS1_jEEvDpT3_,"axG",@progbits,_Z6kernelI26subtract_left_partial_tileLj256ELj3ELb0EJPaPiS1_jEEvDpT3_,comdat
	.protected	_Z6kernelI26subtract_left_partial_tileLj256ELj3ELb0EJPaPiS1_jEEvDpT3_ ; -- Begin function _Z6kernelI26subtract_left_partial_tileLj256ELj3ELb0EJPaPiS1_jEEvDpT3_
	.globl	_Z6kernelI26subtract_left_partial_tileLj256ELj3ELb0EJPaPiS1_jEEvDpT3_
	.p2align	8
	.type	_Z6kernelI26subtract_left_partial_tileLj256ELj3ELb0EJPaPiS1_jEEvDpT3_,@function
_Z6kernelI26subtract_left_partial_tileLj256ELj3ELb0EJPaPiS1_jEEvDpT3_: ; @_Z6kernelI26subtract_left_partial_tileLj256ELj3ELb0EJPaPiS1_jEEvDpT3_
; %bb.0:
	s_clause 0x1
	s_load_b128 s[8:11], s[0:1], 0x0
	s_load_b64 s[2:3], s[0:1], 0x10
	s_mul_i32 s4, s15, 0x300
	s_mov_b32 s6, s15
	s_mov_b32 s7, 0
	v_mad_u32_u24 v2, v0, 3, 2
	v_cmp_ne_u32_e32 vcc_lo, 0, v0
                                        ; implicit-def: $vgpr7
	s_waitcnt lgkmcnt(0)
	s_add_u32 s8, s8, s4
	s_addc_u32 s9, s9, 0
	s_clause 0x2
	global_load_u8 v3, v0, s[8:9] offset:256
	global_load_u8 v4, v0, s[8:9]
	global_load_u8 v5, v0, s[8:9] offset:512
	s_load_b32 s8, s[0:1], 0x18
	s_lshl_b64 s[0:1], s[6:7], 2
	s_delay_alu instid0(SALU_CYCLE_1)
	s_add_u32 s0, s10, s0
	s_addc_u32 s1, s11, s1
	s_load_b32 s1, s[0:1], 0x0
	s_waitcnt lgkmcnt(0)
	v_cvt_f32_u32_e32 v1, s8
	s_sub_i32 s6, 0, s8
	s_delay_alu instid0(VALU_DEP_1)
	v_rcp_iflag_f32_e32 v1, v1
	s_waitcnt_depctr 0xfff
	v_mul_f32_e32 v1, 0x4f7ffffe, v1
	s_waitcnt vmcnt(2)
	v_lshlrev_b16 v3, 8, v3
	s_waitcnt vmcnt(1)
	s_delay_alu instid0(VALU_DEP_1) | instskip(SKIP_1) | instid1(VALU_DEP_2)
	v_or_b32_e32 v4, v4, v3
	v_mad_u32_u24 v3, v0, 3, 1
	v_and_b32_e32 v4, 0xffff, v4
	s_waitcnt vmcnt(0)
	s_delay_alu instid0(VALU_DEP_1) | instskip(SKIP_2) | instid1(VALU_DEP_1)
	v_lshl_or_b32 v5, v5, 16, v4
	v_add_nc_u32_e32 v4, -1, v0
	v_cvt_u32_f32_e32 v1, v1
	v_readfirstlane_b32 s5, v1
	v_mul_u32_u24_e32 v1, 3, v0
	s_delay_alu instid0(VALU_DEP_2) | instskip(NEXT) | instid1(SALU_CYCLE_1)
	s_mul_i32 s6, s6, s5
	s_mul_hi_u32 s6, s5, s6
	s_delay_alu instid0(SALU_CYCLE_1) | instskip(NEXT) | instid1(SALU_CYCLE_1)
	s_add_i32 s5, s5, s6
	s_mul_hi_u32 s5, s5, 0x300
	s_delay_alu instid0(SALU_CYCLE_1) | instskip(NEXT) | instid1(SALU_CYCLE_1)
	s_mul_i32 s6, s5, s8
	s_sub_i32 s0, 0x300, s6
	s_add_i32 s6, s5, 1
	s_sub_i32 s7, s0, s8
	s_cmp_ge_u32 s0, s8
	s_cselect_b32 s5, s6, s5
	s_cselect_b32 s0, s7, s0
	s_add_i32 s6, s5, 1
	s_cmp_ge_u32 s0, s8
	s_cselect_b32 s5, s6, s5
	s_max_u32 s6, s8, 1
	s_add_i32 s5, s5, 1
	s_branch .LBB133_2
.LBB133_1:                              ;   in Loop: Header=BB133_2 Depth=1
	s_or_b32 exec_lo, exec_lo, s0
	v_add_nc_u16 v9, v7, v5
	s_delay_alu instid0(VALU_DEP_2)
	v_add_nc_u16 v8, v11, v8
	v_add_nc_u16 v6, v10, v6
	s_add_i32 s0, s5, s1
	s_add_i32 s6, s6, -1
	v_and_b32_e32 v5, 0xff, v9
	v_lshlrev_b16 v10, 8, v8
	v_and_b32_e32 v11, 0xff, v6
	s_mul_hi_u32 s1, s0, 0xaaaaaaab
	s_delay_alu instid0(SALU_CYCLE_1) | instskip(NEXT) | instid1(VALU_DEP_2)
	s_lshr_b32 s1, s1, 9
	v_or_b32_e32 v5, v5, v10
	s_delay_alu instid0(VALU_DEP_2)
	v_lshlrev_b32_e32 v10, 16, v11
	s_mulk_i32 s1, 0x300
	s_barrier
	s_sub_i32 s1, s0, s1
	v_and_b32_e32 v5, 0xffff, v5
	s_cmp_lg_u32 s6, 0
	buffer_gl0_inv
	v_or_b32_e32 v5, v5, v10
	s_cbranch_scc0 .LBB133_4
.LBB133_2:                              ; =>This Inner Loop Header: Depth=1
	s_delay_alu instid0(VALU_DEP_1)
	v_lshrrev_b32_e32 v6, 16, v5
	v_lshrrev_b32_e32 v8, 8, v5
	v_and_b32_e32 v11, 0xffffff00, v5
	v_and_b32_e32 v7, 0xff, v7
	v_cmp_gt_u32_e64 s0, s1, v2
	v_and_b32_e32 v12, 0xffffff00, v6
	v_sub_nc_u16 v9, v6, v8
	v_sub_nc_u16 v10, v8, v5
	v_or_b32_e32 v11, v7, v11
	ds_store_b8 v0, v6
	s_waitcnt lgkmcnt(0)
	v_and_b32_e32 v9, 0xff, v9
	v_lshlrev_b16 v10, 8, v10
	v_and_b32_e32 v11, 0xffff, v11
	s_barrier
	buffer_gl0_inv
	v_or_b32_e32 v9, v9, v12
	v_or_b32_e32 v7, v7, v10
	v_and_b32_e32 v10, 0xffff0000, v5
	s_delay_alu instid0(VALU_DEP_3) | instskip(NEXT) | instid1(VALU_DEP_3)
	v_lshlrev_b32_e32 v9, 16, v9
	v_and_b32_e32 v7, 0xffff, v7
	s_delay_alu instid0(VALU_DEP_2) | instskip(SKIP_1) | instid1(VALU_DEP_1)
	v_cndmask_b32_e64 v10, v10, v9, s0
	v_cmp_gt_u32_e64 s0, s1, v3
	v_cndmask_b32_e64 v7, v11, v7, s0
	v_cmp_gt_u32_e64 s0, s1, v1
	s_delay_alu instid0(VALU_DEP_2) | instskip(SKIP_2) | instid1(VALU_DEP_4)
	v_or_b32_e32 v9, v7, v10
	v_mov_b32_e32 v7, v5
	v_lshrrev_b32_e32 v10, 16, v10
	s_and_b32 s7, vcc_lo, s0
	s_delay_alu instid0(VALU_DEP_3)
	v_lshrrev_b32_e32 v11, 8, v9
	s_and_saveexec_b32 s0, s7
	s_cbranch_execz .LBB133_1
; %bb.3:                                ;   in Loop: Header=BB133_2 Depth=1
	v_perm_b32 v7, v5, v9, 0x3020104
	v_and_b32_e32 v10, 0xff, v5
	ds_load_u8 v11, v4
	v_lshrrev_b32_e32 v9, 8, v7
	s_delay_alu instid0(VALU_DEP_1) | instskip(NEXT) | instid1(VALU_DEP_1)
	v_lshlrev_b16 v9, 8, v9
	v_or_b32_e32 v9, v10, v9
	s_delay_alu instid0(VALU_DEP_1) | instskip(NEXT) | instid1(VALU_DEP_1)
	v_and_b32_e32 v9, 0xffff, v9
	v_and_or_b32 v9, 0xff0000, v7, v9
	s_waitcnt lgkmcnt(0)
	v_sub_nc_u16 v7, v5, v11
	s_delay_alu instid0(VALU_DEP_2)
	v_lshrrev_b32_e32 v10, 16, v9
	v_lshrrev_b32_e32 v11, 8, v9
	s_branch .LBB133_1
.LBB133_4:
	s_add_u32 s0, s2, s4
	s_addc_u32 s1, s3, 0
	v_add_co_u32 v0, s0, s0, v0
	s_delay_alu instid0(VALU_DEP_1)
	v_add_co_ci_u32_e64 v1, null, s1, 0, s0
	s_clause 0x2
	global_store_b8 v[0:1], v9, off
	global_store_b8 v[0:1], v8, off offset:256
	global_store_b8 v[0:1], v6, off offset:512
	s_nop 0
	s_sendmsg sendmsg(MSG_DEALLOC_VGPRS)
	s_endpgm
	.section	.rodata,"a",@progbits
	.p2align	6, 0x0
	.amdhsa_kernel _Z6kernelI26subtract_left_partial_tileLj256ELj3ELb0EJPaPiS1_jEEvDpT3_
		.amdhsa_group_segment_fixed_size 512
		.amdhsa_private_segment_fixed_size 0
		.amdhsa_kernarg_size 28
		.amdhsa_user_sgpr_count 15
		.amdhsa_user_sgpr_dispatch_ptr 0
		.amdhsa_user_sgpr_queue_ptr 0
		.amdhsa_user_sgpr_kernarg_segment_ptr 1
		.amdhsa_user_sgpr_dispatch_id 0
		.amdhsa_user_sgpr_private_segment_size 0
		.amdhsa_wavefront_size32 1
		.amdhsa_uses_dynamic_stack 0
		.amdhsa_enable_private_segment 0
		.amdhsa_system_sgpr_workgroup_id_x 1
		.amdhsa_system_sgpr_workgroup_id_y 0
		.amdhsa_system_sgpr_workgroup_id_z 0
		.amdhsa_system_sgpr_workgroup_info 0
		.amdhsa_system_vgpr_workitem_id 0
		.amdhsa_next_free_vgpr 13
		.amdhsa_next_free_sgpr 16
		.amdhsa_reserve_vcc 1
		.amdhsa_float_round_mode_32 0
		.amdhsa_float_round_mode_16_64 0
		.amdhsa_float_denorm_mode_32 3
		.amdhsa_float_denorm_mode_16_64 3
		.amdhsa_dx10_clamp 1
		.amdhsa_ieee_mode 1
		.amdhsa_fp16_overflow 0
		.amdhsa_workgroup_processor_mode 1
		.amdhsa_memory_ordered 1
		.amdhsa_forward_progress 0
		.amdhsa_shared_vgpr_count 0
		.amdhsa_exception_fp_ieee_invalid_op 0
		.amdhsa_exception_fp_denorm_src 0
		.amdhsa_exception_fp_ieee_div_zero 0
		.amdhsa_exception_fp_ieee_overflow 0
		.amdhsa_exception_fp_ieee_underflow 0
		.amdhsa_exception_fp_ieee_inexact 0
		.amdhsa_exception_int_div_zero 0
	.end_amdhsa_kernel
	.section	.text._Z6kernelI26subtract_left_partial_tileLj256ELj3ELb0EJPaPiS1_jEEvDpT3_,"axG",@progbits,_Z6kernelI26subtract_left_partial_tileLj256ELj3ELb0EJPaPiS1_jEEvDpT3_,comdat
.Lfunc_end133:
	.size	_Z6kernelI26subtract_left_partial_tileLj256ELj3ELb0EJPaPiS1_jEEvDpT3_, .Lfunc_end133-_Z6kernelI26subtract_left_partial_tileLj256ELj3ELb0EJPaPiS1_jEEvDpT3_
                                        ; -- End function
	.section	.AMDGPU.csdata,"",@progbits
; Kernel info:
; codeLenInByte = 828
; NumSgprs: 18
; NumVgprs: 13
; ScratchSize: 0
; MemoryBound: 0
; FloatMode: 240
; IeeeMode: 1
; LDSByteSize: 512 bytes/workgroup (compile time only)
; SGPRBlocks: 2
; VGPRBlocks: 1
; NumSGPRsForWavesPerEU: 18
; NumVGPRsForWavesPerEU: 13
; Occupancy: 16
; WaveLimiterHint : 1
; COMPUTE_PGM_RSRC2:SCRATCH_EN: 0
; COMPUTE_PGM_RSRC2:USER_SGPR: 15
; COMPUTE_PGM_RSRC2:TRAP_HANDLER: 0
; COMPUTE_PGM_RSRC2:TGID_X_EN: 1
; COMPUTE_PGM_RSRC2:TGID_Y_EN: 0
; COMPUTE_PGM_RSRC2:TGID_Z_EN: 0
; COMPUTE_PGM_RSRC2:TIDIG_COMP_CNT: 0
	.section	.text._Z6kernelI26subtract_left_partial_tileLj256ELj4ELb0EJPaPiS1_jEEvDpT3_,"axG",@progbits,_Z6kernelI26subtract_left_partial_tileLj256ELj4ELb0EJPaPiS1_jEEvDpT3_,comdat
	.protected	_Z6kernelI26subtract_left_partial_tileLj256ELj4ELb0EJPaPiS1_jEEvDpT3_ ; -- Begin function _Z6kernelI26subtract_left_partial_tileLj256ELj4ELb0EJPaPiS1_jEEvDpT3_
	.globl	_Z6kernelI26subtract_left_partial_tileLj256ELj4ELb0EJPaPiS1_jEEvDpT3_
	.p2align	8
	.type	_Z6kernelI26subtract_left_partial_tileLj256ELj4ELb0EJPaPiS1_jEEvDpT3_,@function
_Z6kernelI26subtract_left_partial_tileLj256ELj4ELb0EJPaPiS1_jEEvDpT3_: ; @_Z6kernelI26subtract_left_partial_tileLj256ELj4ELb0EJPaPiS1_jEEvDpT3_
; %bb.0:
	s_clause 0x1
	s_load_b128 s[8:11], s[0:1], 0x0
	s_load_b64 s[2:3], s[0:1], 0x10
	s_lshl_b32 s4, s15, 10
	s_mov_b32 s6, s15
	s_mov_b32 s7, 0
	v_cmp_ne_u32_e32 vcc_lo, 0, v0
                                        ; implicit-def: $vgpr7
	s_waitcnt lgkmcnt(0)
	s_add_u32 s8, s8, s4
	s_addc_u32 s9, s9, 0
	s_clause 0x3
	global_load_u8 v3, v0, s[8:9] offset:256
	global_load_u8 v4, v0, s[8:9] offset:768
	global_load_u8 v5, v0, s[8:9]
	global_load_u8 v6, v0, s[8:9] offset:512
	s_load_b32 s8, s[0:1], 0x18
	s_lshl_b64 s[0:1], s[6:7], 2
	s_delay_alu instid0(SALU_CYCLE_1)
	s_add_u32 s0, s10, s0
	s_addc_u32 s1, s11, s1
	s_load_b32 s1, s[0:1], 0x0
	s_waitcnt lgkmcnt(0)
	v_cvt_f32_u32_e32 v1, s8
	s_sub_i32 s6, 0, s8
	s_delay_alu instid0(VALU_DEP_1)
	v_rcp_iflag_f32_e32 v1, v1
	s_waitcnt vmcnt(3)
	v_lshlrev_b16 v3, 8, v3
	s_waitcnt vmcnt(2)
	v_lshlrev_b16 v4, 8, v4
	s_waitcnt vmcnt(1)
	s_delay_alu instid0(VALU_DEP_2) | instskip(SKIP_1) | instid1(VALU_DEP_2)
	v_or_b32_e32 v5, v5, v3
	s_waitcnt vmcnt(0)
	v_or_b32_e32 v4, v6, v4
	s_waitcnt_depctr 0xfff
	v_mul_f32_e32 v1, 0x4f7ffffe, v1
	v_and_b32_e32 v5, 0xffff, v5
	v_lshlrev_b32_e32 v6, 16, v4
	s_delay_alu instid0(VALU_DEP_3) | instskip(NEXT) | instid1(VALU_DEP_2)
	v_cvt_u32_f32_e32 v1, v1
	v_or_b32_e32 v6, v5, v6
	s_delay_alu instid0(VALU_DEP_2) | instskip(SKIP_2) | instid1(VALU_DEP_3)
	v_readfirstlane_b32 s5, v1
	v_lshlrev_b32_e32 v1, 2, v0
	v_add_nc_u32_e32 v5, -1, v0
	s_mul_i32 s6, s6, s5
	s_delay_alu instid0(VALU_DEP_2)
	v_or_b32_e32 v2, 3, v1
	s_mul_hi_u32 s6, s5, s6
	v_or_b32_e32 v3, 2, v1
	s_add_i32 s5, s5, s6
	v_or_b32_e32 v4, 1, v1
	s_lshr_b32 s5, s5, 22
	s_delay_alu instid0(SALU_CYCLE_1) | instskip(NEXT) | instid1(SALU_CYCLE_1)
	s_mul_i32 s6, s5, s8
	s_sub_i32 s0, 0x400, s6
	s_add_i32 s6, s5, 1
	s_sub_i32 s7, s0, s8
	s_cmp_ge_u32 s0, s8
	s_cselect_b32 s5, s6, s5
	s_cselect_b32 s0, s7, s0
	s_add_i32 s6, s5, 1
	s_cmp_ge_u32 s0, s8
	s_cselect_b32 s5, s6, s5
	s_max_u32 s6, s8, 1
	s_add_i32 s5, s5, 1
	s_branch .LBB134_2
.LBB134_1:                              ;   in Loop: Header=BB134_2 Depth=1
	s_or_b32 exec_lo, exec_lo, s0
	s_delay_alu instid0(VALU_DEP_1)
	v_add_nc_u16 v12, v7, v6
	v_add_nc_u16 v10, v14, v10
	;; [unrolled: 1-line block ×4, first 2 shown]
	s_add_i32 s0, s5, s1
	v_and_b32_e32 v6, 0xff, v12
	v_lshlrev_b16 v11, 8, v10
	v_and_b32_e32 v13, 0xff, v8
	v_lshlrev_b16 v14, 8, v9
	s_add_i32 s6, s6, -1
	s_and_b32 s1, s0, 0x3ff
	v_or_b32_e32 v6, v6, v11
	s_cmp_lg_u32 s6, 0
	v_or_b32_e32 v11, v13, v14
	s_barrier
	s_delay_alu instid0(VALU_DEP_2) | instskip(SKIP_2) | instid1(VALU_DEP_1)
	v_and_b32_e32 v6, 0xffff, v6
	buffer_gl0_inv
	v_lshlrev_b32_e32 v11, 16, v11
	v_or_b32_e32 v6, v6, v11
	s_cbranch_scc0 .LBB134_4
.LBB134_2:                              ; =>This Inner Loop Header: Depth=1
	s_delay_alu instid0(VALU_DEP_1)
	v_lshrrev_b32_e32 v8, 16, v6
	v_lshrrev_b32_e32 v9, 24, v6
	;; [unrolled: 1-line block ×3, first 2 shown]
	v_and_b32_e32 v13, 0xffffff00, v6
	v_and_b32_e32 v7, 0xff, v7
	v_cmp_gt_u32_e64 s0, s1, v2
	v_sub_nc_u16 v11, v9, v8
	v_sub_nc_u16 v12, v10, v6
	;; [unrolled: 1-line block ×3, first 2 shown]
	v_or_b32_e32 v13, v7, v13
	ds_store_b8 v0, v9
	v_lshlrev_b16 v11, 8, v11
	v_lshlrev_b16 v12, 8, v12
	v_and_b32_e32 v14, 0xff, v14
	v_and_b32_e32 v13, 0xffff, v13
	s_waitcnt lgkmcnt(0)
	v_cndmask_b32_e64 v11, v8, v11, s0
	v_or_b32_e32 v7, v7, v12
	v_and_b32_e32 v12, 0xff, v8
	v_cmp_gt_u32_e64 s0, s1, v4
	s_barrier
	v_and_b32_e32 v11, 0xffffff00, v11
	v_and_b32_e32 v7, 0xffff, v7
	buffer_gl0_inv
	v_or_b32_e32 v14, v14, v11
	v_or_b32_e32 v11, v12, v11
	v_cndmask_b32_e64 v7, v13, v7, s0
	v_cmp_gt_u32_e64 s0, s1, v3
	s_delay_alu instid0(VALU_DEP_1) | instskip(SKIP_1) | instid1(VALU_DEP_2)
	v_cndmask_b32_e64 v11, v11, v14, s0
	v_cmp_gt_u32_e64 s0, s1, v1
	v_lshl_or_b32 v12, v11, 16, v7
	v_mov_b32_e32 v7, v6
	v_bfe_u32 v13, v11, 8, 8
	s_delay_alu instid0(VALU_DEP_4) | instskip(NEXT) | instid1(VALU_DEP_3)
	s_and_b32 s7, vcc_lo, s0
	v_lshrrev_b32_e32 v14, 8, v12
	s_and_saveexec_b32 s0, s7
	s_cbranch_execz .LBB134_1
; %bb.3:                                ;   in Loop: Header=BB134_2 Depth=1
	ds_load_u8 v7, v5
	v_perm_b32 v12, v6, v12, 0x3020104
	s_delay_alu instid0(VALU_DEP_1)
	v_lshrrev_b32_e32 v11, 16, v12
	v_lshrrev_b32_e32 v13, 24, v12
	;; [unrolled: 1-line block ×3, first 2 shown]
	s_waitcnt lgkmcnt(0)
	v_sub_nc_u16 v7, v6, v7
	s_branch .LBB134_1
.LBB134_4:
	s_add_u32 s0, s2, s4
	s_addc_u32 s1, s3, 0
	v_add_co_u32 v0, s0, s0, v0
	s_delay_alu instid0(VALU_DEP_1)
	v_add_co_ci_u32_e64 v1, null, s1, 0, s0
	s_clause 0x3
	global_store_b8 v[0:1], v12, off
	global_store_b8 v[0:1], v10, off offset:256
	global_store_b8 v[0:1], v8, off offset:512
	;; [unrolled: 1-line block ×3, first 2 shown]
	s_nop 0
	s_sendmsg sendmsg(MSG_DEALLOC_VGPRS)
	s_endpgm
	.section	.rodata,"a",@progbits
	.p2align	6, 0x0
	.amdhsa_kernel _Z6kernelI26subtract_left_partial_tileLj256ELj4ELb0EJPaPiS1_jEEvDpT3_
		.amdhsa_group_segment_fixed_size 512
		.amdhsa_private_segment_fixed_size 0
		.amdhsa_kernarg_size 28
		.amdhsa_user_sgpr_count 15
		.amdhsa_user_sgpr_dispatch_ptr 0
		.amdhsa_user_sgpr_queue_ptr 0
		.amdhsa_user_sgpr_kernarg_segment_ptr 1
		.amdhsa_user_sgpr_dispatch_id 0
		.amdhsa_user_sgpr_private_segment_size 0
		.amdhsa_wavefront_size32 1
		.amdhsa_uses_dynamic_stack 0
		.amdhsa_enable_private_segment 0
		.amdhsa_system_sgpr_workgroup_id_x 1
		.amdhsa_system_sgpr_workgroup_id_y 0
		.amdhsa_system_sgpr_workgroup_id_z 0
		.amdhsa_system_sgpr_workgroup_info 0
		.amdhsa_system_vgpr_workitem_id 0
		.amdhsa_next_free_vgpr 15
		.amdhsa_next_free_sgpr 16
		.amdhsa_reserve_vcc 1
		.amdhsa_float_round_mode_32 0
		.amdhsa_float_round_mode_16_64 0
		.amdhsa_float_denorm_mode_32 3
		.amdhsa_float_denorm_mode_16_64 3
		.amdhsa_dx10_clamp 1
		.amdhsa_ieee_mode 1
		.amdhsa_fp16_overflow 0
		.amdhsa_workgroup_processor_mode 1
		.amdhsa_memory_ordered 1
		.amdhsa_forward_progress 0
		.amdhsa_shared_vgpr_count 0
		.amdhsa_exception_fp_ieee_invalid_op 0
		.amdhsa_exception_fp_denorm_src 0
		.amdhsa_exception_fp_ieee_div_zero 0
		.amdhsa_exception_fp_ieee_overflow 0
		.amdhsa_exception_fp_ieee_underflow 0
		.amdhsa_exception_fp_ieee_inexact 0
		.amdhsa_exception_int_div_zero 0
	.end_amdhsa_kernel
	.section	.text._Z6kernelI26subtract_left_partial_tileLj256ELj4ELb0EJPaPiS1_jEEvDpT3_,"axG",@progbits,_Z6kernelI26subtract_left_partial_tileLj256ELj4ELb0EJPaPiS1_jEEvDpT3_,comdat
.Lfunc_end134:
	.size	_Z6kernelI26subtract_left_partial_tileLj256ELj4ELb0EJPaPiS1_jEEvDpT3_, .Lfunc_end134-_Z6kernelI26subtract_left_partial_tileLj256ELj4ELb0EJPaPiS1_jEEvDpT3_
                                        ; -- End function
	.section	.AMDGPU.csdata,"",@progbits
; Kernel info:
; codeLenInByte = 840
; NumSgprs: 18
; NumVgprs: 15
; ScratchSize: 0
; MemoryBound: 0
; FloatMode: 240
; IeeeMode: 1
; LDSByteSize: 512 bytes/workgroup (compile time only)
; SGPRBlocks: 2
; VGPRBlocks: 1
; NumSGPRsForWavesPerEU: 18
; NumVGPRsForWavesPerEU: 15
; Occupancy: 16
; WaveLimiterHint : 1
; COMPUTE_PGM_RSRC2:SCRATCH_EN: 0
; COMPUTE_PGM_RSRC2:USER_SGPR: 15
; COMPUTE_PGM_RSRC2:TRAP_HANDLER: 0
; COMPUTE_PGM_RSRC2:TGID_X_EN: 1
; COMPUTE_PGM_RSRC2:TGID_Y_EN: 0
; COMPUTE_PGM_RSRC2:TGID_Z_EN: 0
; COMPUTE_PGM_RSRC2:TIDIG_COMP_CNT: 0
	.section	.text._Z6kernelI26subtract_left_partial_tileLj256ELj8ELb0EJPaPiS1_jEEvDpT3_,"axG",@progbits,_Z6kernelI26subtract_left_partial_tileLj256ELj8ELb0EJPaPiS1_jEEvDpT3_,comdat
	.protected	_Z6kernelI26subtract_left_partial_tileLj256ELj8ELb0EJPaPiS1_jEEvDpT3_ ; -- Begin function _Z6kernelI26subtract_left_partial_tileLj256ELj8ELb0EJPaPiS1_jEEvDpT3_
	.globl	_Z6kernelI26subtract_left_partial_tileLj256ELj8ELb0EJPaPiS1_jEEvDpT3_
	.p2align	8
	.type	_Z6kernelI26subtract_left_partial_tileLj256ELj8ELb0EJPaPiS1_jEEvDpT3_,@function
_Z6kernelI26subtract_left_partial_tileLj256ELj8ELb0EJPaPiS1_jEEvDpT3_: ; @_Z6kernelI26subtract_left_partial_tileLj256ELj8ELb0EJPaPiS1_jEEvDpT3_
; %bb.0:
	s_clause 0x1
	s_load_b128 s[4:7], s[0:1], 0x0
	s_load_b64 s[2:3], s[0:1], 0x10
	s_lshl_b32 s8, s15, 11
	s_mov_b32 s10, s15
	s_mov_b32 s11, 0
	v_cmp_ne_u32_e32 vcc_lo, 0, v0
                                        ; implicit-def: $vgpr18
                                        ; implicit-def: $vgpr20
                                        ; implicit-def: $vgpr19
	v_add_nc_u32_e32 v2, -1, v0
	s_waitcnt lgkmcnt(0)
	s_add_u32 s4, s4, s8
	s_addc_u32 s5, s5, 0
	s_clause 0x7
	global_load_u8 v9, v0, s[4:5] offset:256
	global_load_u8 v10, v0, s[4:5] offset:768
	;; [unrolled: 1-line block ×4, first 2 shown]
	global_load_u8 v13, v0, s[4:5]
	global_load_u8 v14, v0, s[4:5] offset:512
	global_load_u8 v15, v0, s[4:5] offset:1024
	;; [unrolled: 1-line block ×3, first 2 shown]
	s_load_b32 s5, s[0:1], 0x18
	s_lshl_b64 s[0:1], s[10:11], 2
	s_delay_alu instid0(SALU_CYCLE_1)
	s_add_u32 s0, s6, s0
	s_addc_u32 s1, s7, s1
	s_load_b32 s1, s[0:1], 0x0
	s_waitcnt lgkmcnt(0)
	v_cvt_f32_u32_e32 v1, s5
	s_sub_i32 s6, 0, s5
	s_delay_alu instid0(VALU_DEP_1) | instskip(SKIP_2) | instid1(VALU_DEP_1)
	v_rcp_iflag_f32_e32 v1, v1
	s_waitcnt_depctr 0xfff
	v_mul_f32_e32 v1, 0x4f7ffffe, v1
	v_cvt_u32_f32_e32 v3, v1
	v_lshlrev_b32_e32 v1, 3, v0
	s_delay_alu instid0(VALU_DEP_2) | instskip(NEXT) | instid1(VALU_DEP_2)
	v_readfirstlane_b32 s4, v3
	v_or_b32_e32 v3, 7, v1
	v_or_b32_e32 v4, 6, v1
	;; [unrolled: 1-line block ×4, first 2 shown]
	s_mul_i32 s6, s6, s4
	v_or_b32_e32 v7, 3, v1
	s_mul_hi_u32 s6, s4, s6
	v_or_b32_e32 v8, 2, v1
	s_add_i32 s4, s4, s6
	s_delay_alu instid0(SALU_CYCLE_1) | instskip(NEXT) | instid1(SALU_CYCLE_1)
	s_lshr_b32 s4, s4, 21
	s_mul_i32 s6, s4, s5
	s_add_i32 s7, s4, 1
	s_sub_i32 s6, 0x800, s6
	s_delay_alu instid0(SALU_CYCLE_1)
	s_sub_i32 s9, s6, s5
	s_cmp_ge_u32 s6, s5
	s_cselect_b32 s0, s7, s4
	s_cselect_b32 s4, s9, s6
	s_add_i32 s6, s0, 1
	s_cmp_ge_u32 s4, s5
	s_cselect_b32 s4, s6, s0
	s_max_u32 s5, s5, 1
	s_add_i32 s4, s4, 1
	s_waitcnt vmcnt(7)
	v_lshlrev_b16 v9, 8, v9
	s_waitcnt vmcnt(6)
	v_lshlrev_b16 v10, 8, v10
	;; [unrolled: 2-line block ×4, first 2 shown]
	s_waitcnt vmcnt(3)
	v_or_b32_e32 v9, v13, v9
	s_waitcnt vmcnt(2)
	v_or_b32_e32 v10, v14, v10
	;; [unrolled: 2-line block ×4, first 2 shown]
                                        ; implicit-def: $vgpr16
	v_and_b32_e32 v13, 0xffff, v9
	v_lshlrev_b32_e32 v10, 16, v10
	v_and_b32_e32 v14, 0xffff, v11
	s_delay_alu instid0(VALU_DEP_4) | instskip(SKIP_1) | instid1(VALU_DEP_4)
	v_lshlrev_b32_e32 v12, 16, v12
	v_or_b32_e32 v9, 1, v1
	v_or_b32_e32 v11, v13, v10
	s_delay_alu instid0(VALU_DEP_3)
	v_or_b32_e32 v10, v14, v12
	s_branch .LBB135_2
.LBB135_1:                              ;   in Loop: Header=BB135_2 Depth=1
	s_or_b32 exec_lo, exec_lo, s0
	s_delay_alu instid0(VALU_DEP_1)
	v_lshrrev_b32_e32 v22, 8, v18
	v_lshrrev_b32_e32 v23, 16, v18
	;; [unrolled: 1-line block ×3, first 2 shown]
	v_add_nc_u16 v21, v18, v11
	v_lshrrev_b32_e32 v11, 24, v18
	v_add_nc_u16 v22, v22, v20
	v_lshrrev_b32_e32 v20, 8, v16
	v_lshrrev_b32_e32 v24, 24, v16
	v_add_nc_u16 v15, v23, v15
	v_add_nc_u16 v17, v11, v17
	;; [unrolled: 1-line block ×6, first 2 shown]
	v_and_b32_e32 v10, 0xff, v21
	v_lshlrev_b16 v11, 8, v22
	v_lshlrev_b16 v24, 8, v17
	v_and_b32_e32 v25, 0xff, v15
	v_and_b32_e32 v26, 0xff, v23
	v_lshlrev_b16 v27, 8, v14
	v_lshlrev_b16 v28, 8, v13
	v_and_b32_e32 v29, 0xff, v12
	v_or_b32_e32 v10, v10, v11
	v_or_b32_e32 v11, v25, v24
	;; [unrolled: 1-line block ×3, first 2 shown]
	s_add_i32 s0, s4, s1
	v_or_b32_e32 v25, v29, v28
	v_and_b32_e32 v10, 0xffff, v10
	v_lshlrev_b32_e32 v11, 16, v11
	v_and_b32_e32 v24, 0xffff, v24
	s_add_i32 s5, s5, -1
	v_lshlrev_b32_e32 v25, 16, v25
	s_and_b32 s1, s0, 0x7ff
	v_or_b32_e32 v11, v10, v11
	s_cmp_lg_u32 s5, 0
	s_delay_alu instid0(VALU_DEP_2)
	v_or_b32_e32 v10, v24, v25
	s_barrier
	buffer_gl0_inv
	s_cbranch_scc0 .LBB135_4
.LBB135_2:                              ; =>This Inner Loop Header: Depth=1
	s_delay_alu instid0(VALU_DEP_1)
	v_lshrrev_b32_e32 v12, 16, v10
	v_lshrrev_b32_e32 v13, 24, v10
	v_and_b32_e32 v14, 0xffffff00, v11
	v_and_b32_e32 v18, 0xff, v18
	;; [unrolled: 1-line block ×3, first 2 shown]
	v_lshlrev_b16 v17, 8, v20
	v_sub_nc_u16 v20, v13, v12
	v_and_b32_e32 v19, 0xff, v19
	v_or_b32_e32 v21, v18, v14
	v_lshrrev_b32_e32 v14, 8, v10
	v_or_b32_e32 v16, v16, v17
	v_and_b32_e32 v17, 0xffffff00, v12
	v_lshlrev_b16 v20, 8, v20
	v_and_b32_e32 v22, 0xffffff00, v10
	v_sub_nc_u16 v24, v14, v10
	v_and_b32_e32 v23, 0xff, v16
	v_or_b32_e32 v17, v19, v17
	v_or_b32_e32 v19, v19, v20
	v_cmp_gt_u32_e64 s0, s1, v3
	v_lshrrev_b32_e32 v15, 16, v11
	v_or_b32_e32 v20, v23, v22
	v_lshlrev_b16 v22, 8, v24
	v_and_b32_e32 v24, 0xff, v12
	v_cndmask_b32_e64 v17, v17, v19, s0
	v_cmp_gt_u32_e64 s0, s1, v5
	v_and_b32_e32 v20, 0xffff, v20
	v_or_b32_e32 v22, v23, v22
	v_sub_nc_u16 v23, v12, v14
	v_and_b32_e32 v26, 0xffffff00, v17
	v_lshrrev_b32_e32 v17, 24, v11
	v_and_b32_e32 v25, 0xff, v15
	v_and_b32_e32 v22, 0xffff, v22
	;; [unrolled: 1-line block ×3, first 2 shown]
	v_or_b32_e32 v24, v24, v26
	v_sub_nc_u16 v27, v17, v15
	v_and_b32_e32 v19, 0xff, v10
	v_cndmask_b32_e64 v22, v20, v22, s0
	v_or_b32_e32 v23, v23, v26
	v_lshrrev_b32_e32 v20, 8, v11
	v_lshlrev_b16 v26, 8, v27
	v_cmp_gt_u32_e64 s0, s1, v7
	v_sub_nc_u16 v27, v10, v17
	v_and_b32_e32 v22, 0xffffff00, v22
	v_sub_nc_u16 v28, v20, v11
	v_sub_nc_u16 v29, v15, v20
	v_cndmask_b32_e64 v26, v15, v26, s0
	v_cmp_gt_u32_e64 s0, s1, v4
	v_and_b32_e32 v27, 0xff, v27
	v_lshlrev_b16 v28, 8, v28
	v_and_b32_e32 v29, 0xff, v29
	v_and_b32_e32 v26, 0xffffff00, v26
	v_cndmask_b32_e64 v23, v24, v23, s0
	v_cmp_gt_u32_e64 s0, s1, v8
	v_or_b32_e32 v18, v18, v28
	v_or_b32_e32 v19, v19, v22
	;; [unrolled: 1-line block ×5, first 2 shown]
	v_and_b32_e32 v21, 0xffff, v21
	v_and_b32_e32 v18, 0xffff, v18
	;; [unrolled: 1-line block ×3, first 2 shown]
	v_cndmask_b32_e64 v24, v25, v24, s0
	v_cmp_gt_u32_e64 s0, s1, v9
	v_and_b32_e32 v19, 0xffff, v19
	v_and_b32_e32 v22, 0xffff, v22
	v_lshl_or_b32 v16, v23, 16, v16
	ds_store_b8 v0, v13
	v_cndmask_b32_e64 v18, v21, v18, s0
	v_cmp_gt_u32_e64 s0, s1, v6
	s_waitcnt lgkmcnt(0)
	s_barrier
	buffer_gl0_inv
	v_lshl_or_b32 v18, v24, 16, v18
	v_cndmask_b32_e64 v19, v19, v22, s0
	v_cmp_gt_u32_e64 s0, s1, v1
	s_delay_alu instid0(VALU_DEP_3) | instskip(NEXT) | instid1(VALU_DEP_3)
	v_perm_b32 v18, v11, v18, 0x3020104
	v_and_or_b32 v16, 0xffff0000, v16, v19
	s_delay_alu instid0(VALU_DEP_3) | instskip(NEXT) | instid1(SALU_CYCLE_1)
	s_and_b32 s6, vcc_lo, s0
	s_and_saveexec_b32 s0, s6
	s_cbranch_execz .LBB135_1
; %bb.3:                                ;   in Loop: Header=BB135_2 Depth=1
	ds_load_u8 v19, v2
	s_waitcnt lgkmcnt(0)
	v_sub_nc_u16 v19, v11, v19
	s_delay_alu instid0(VALU_DEP_1)
	v_perm_b32 v18, v19, v18, 0x3020104
	s_branch .LBB135_1
.LBB135_4:
	s_add_u32 s0, s2, s8
	s_addc_u32 s1, s3, 0
	v_add_co_u32 v0, s0, s0, v0
	s_delay_alu instid0(VALU_DEP_1)
	v_add_co_ci_u32_e64 v1, null, s1, 0, s0
	s_clause 0x7
	global_store_b8 v[0:1], v21, off
	global_store_b8 v[0:1], v22, off offset:256
	global_store_b8 v[0:1], v15, off offset:512
	;; [unrolled: 1-line block ×7, first 2 shown]
	s_nop 0
	s_sendmsg sendmsg(MSG_DEALLOC_VGPRS)
	s_endpgm
	.section	.rodata,"a",@progbits
	.p2align	6, 0x0
	.amdhsa_kernel _Z6kernelI26subtract_left_partial_tileLj256ELj8ELb0EJPaPiS1_jEEvDpT3_
		.amdhsa_group_segment_fixed_size 512
		.amdhsa_private_segment_fixed_size 0
		.amdhsa_kernarg_size 28
		.amdhsa_user_sgpr_count 15
		.amdhsa_user_sgpr_dispatch_ptr 0
		.amdhsa_user_sgpr_queue_ptr 0
		.amdhsa_user_sgpr_kernarg_segment_ptr 1
		.amdhsa_user_sgpr_dispatch_id 0
		.amdhsa_user_sgpr_private_segment_size 0
		.amdhsa_wavefront_size32 1
		.amdhsa_uses_dynamic_stack 0
		.amdhsa_enable_private_segment 0
		.amdhsa_system_sgpr_workgroup_id_x 1
		.amdhsa_system_sgpr_workgroup_id_y 0
		.amdhsa_system_sgpr_workgroup_id_z 0
		.amdhsa_system_sgpr_workgroup_info 0
		.amdhsa_system_vgpr_workitem_id 0
		.amdhsa_next_free_vgpr 30
		.amdhsa_next_free_sgpr 16
		.amdhsa_reserve_vcc 1
		.amdhsa_float_round_mode_32 0
		.amdhsa_float_round_mode_16_64 0
		.amdhsa_float_denorm_mode_32 3
		.amdhsa_float_denorm_mode_16_64 3
		.amdhsa_dx10_clamp 1
		.amdhsa_ieee_mode 1
		.amdhsa_fp16_overflow 0
		.amdhsa_workgroup_processor_mode 1
		.amdhsa_memory_ordered 1
		.amdhsa_forward_progress 0
		.amdhsa_shared_vgpr_count 0
		.amdhsa_exception_fp_ieee_invalid_op 0
		.amdhsa_exception_fp_denorm_src 0
		.amdhsa_exception_fp_ieee_div_zero 0
		.amdhsa_exception_fp_ieee_overflow 0
		.amdhsa_exception_fp_ieee_underflow 0
		.amdhsa_exception_fp_ieee_inexact 0
		.amdhsa_exception_int_div_zero 0
	.end_amdhsa_kernel
	.section	.text._Z6kernelI26subtract_left_partial_tileLj256ELj8ELb0EJPaPiS1_jEEvDpT3_,"axG",@progbits,_Z6kernelI26subtract_left_partial_tileLj256ELj8ELb0EJPaPiS1_jEEvDpT3_,comdat
.Lfunc_end135:
	.size	_Z6kernelI26subtract_left_partial_tileLj256ELj8ELb0EJPaPiS1_jEEvDpT3_, .Lfunc_end135-_Z6kernelI26subtract_left_partial_tileLj256ELj8ELb0EJPaPiS1_jEEvDpT3_
                                        ; -- End function
	.section	.AMDGPU.csdata,"",@progbits
; Kernel info:
; codeLenInByte = 1388
; NumSgprs: 18
; NumVgprs: 30
; ScratchSize: 0
; MemoryBound: 0
; FloatMode: 240
; IeeeMode: 1
; LDSByteSize: 512 bytes/workgroup (compile time only)
; SGPRBlocks: 2
; VGPRBlocks: 3
; NumSGPRsForWavesPerEU: 18
; NumVGPRsForWavesPerEU: 30
; Occupancy: 16
; WaveLimiterHint : 1
; COMPUTE_PGM_RSRC2:SCRATCH_EN: 0
; COMPUTE_PGM_RSRC2:USER_SGPR: 15
; COMPUTE_PGM_RSRC2:TRAP_HANDLER: 0
; COMPUTE_PGM_RSRC2:TGID_X_EN: 1
; COMPUTE_PGM_RSRC2:TGID_Y_EN: 0
; COMPUTE_PGM_RSRC2:TGID_Z_EN: 0
; COMPUTE_PGM_RSRC2:TIDIG_COMP_CNT: 0
	.section	.text._Z6kernelI26subtract_left_partial_tileLj256ELj16ELb0EJPaPiS1_jEEvDpT3_,"axG",@progbits,_Z6kernelI26subtract_left_partial_tileLj256ELj16ELb0EJPaPiS1_jEEvDpT3_,comdat
	.protected	_Z6kernelI26subtract_left_partial_tileLj256ELj16ELb0EJPaPiS1_jEEvDpT3_ ; -- Begin function _Z6kernelI26subtract_left_partial_tileLj256ELj16ELb0EJPaPiS1_jEEvDpT3_
	.globl	_Z6kernelI26subtract_left_partial_tileLj256ELj16ELb0EJPaPiS1_jEEvDpT3_
	.p2align	8
	.type	_Z6kernelI26subtract_left_partial_tileLj256ELj16ELb0EJPaPiS1_jEEvDpT3_,@function
_Z6kernelI26subtract_left_partial_tileLj256ELj16ELb0EJPaPiS1_jEEvDpT3_: ; @_Z6kernelI26subtract_left_partial_tileLj256ELj16ELb0EJPaPiS1_jEEvDpT3_
; %bb.0:
	s_clause 0x1
	s_load_b128 s[4:7], s[0:1], 0x0
	s_load_b64 s[2:3], s[0:1], 0x10
	s_lshl_b32 s10, s15, 12
	s_mov_b32 s8, s15
	s_mov_b32 s9, 0
	v_cmp_ne_u32_e32 vcc_lo, 0, v0
                                        ; implicit-def: $vgpr37
                                        ; implicit-def: $vgpr36
                                        ; implicit-def: $vgpr34
	s_waitcnt lgkmcnt(0)
	s_add_u32 s4, s4, s10
	s_addc_u32 s5, s5, 0
	s_clause 0xf
	global_load_u8 v18, v0, s[4:5] offset:256
	global_load_u8 v19, v0, s[4:5] offset:768
	;; [unrolled: 1-line block ×8, first 2 shown]
	global_load_u8 v26, v0, s[4:5]
	global_load_u8 v27, v0, s[4:5] offset:512
	global_load_u8 v28, v0, s[4:5] offset:1024
	;; [unrolled: 1-line block ×7, first 2 shown]
	s_load_b32 s5, s[0:1], 0x18
	s_lshl_b64 s[0:1], s[8:9], 2
	s_delay_alu instid0(SALU_CYCLE_1)
	s_add_u32 s0, s6, s0
	s_addc_u32 s1, s7, s1
	s_load_b32 s1, s[0:1], 0x0
	s_waitcnt lgkmcnt(0)
	v_cvt_f32_u32_e32 v1, s5
	s_sub_i32 s6, 0, s5
	s_delay_alu instid0(VALU_DEP_1) | instskip(SKIP_2) | instid1(VALU_DEP_1)
	v_rcp_iflag_f32_e32 v5, v1
	v_add_nc_u32_e32 v2, -1, v0
	v_lshlrev_b32_e32 v1, 4, v0
	v_or_b32_e32 v3, 15, v1
	v_or_b32_e32 v4, 14, v1
	;; [unrolled: 1-line block ×3, first 2 shown]
	s_waitcnt_depctr 0xfff
	v_mul_f32_e32 v9, 0x4f7ffffe, v5
	v_or_b32_e32 v5, 13, v1
	v_or_b32_e32 v7, 11, v1
	;; [unrolled: 1-line block ×4, first 2 shown]
	v_cvt_u32_f32_e32 v12, v9
	v_or_b32_e32 v9, 9, v1
	v_or_b32_e32 v11, 7, v1
	;; [unrolled: 1-line block ×4, first 2 shown]
	v_readfirstlane_b32 s4, v12
	v_or_b32_e32 v12, 6, v1
	v_or_b32_e32 v15, 3, v1
	;; [unrolled: 1-line block ×4, first 2 shown]
	s_mul_i32 s6, s6, s4
	s_delay_alu instid0(SALU_CYCLE_1) | instskip(NEXT) | instid1(SALU_CYCLE_1)
	s_mul_hi_u32 s6, s4, s6
	s_add_i32 s4, s4, s6
	s_delay_alu instid0(SALU_CYCLE_1) | instskip(NEXT) | instid1(SALU_CYCLE_1)
	s_lshr_b32 s4, s4, 20
	s_mul_i32 s6, s4, s5
	s_add_i32 s7, s4, 1
	s_sub_i32 s6, 0x1000, s6
	s_delay_alu instid0(SALU_CYCLE_1)
	s_sub_i32 s8, s6, s5
	s_cmp_ge_u32 s6, s5
	s_cselect_b32 s0, s7, s4
	s_cselect_b32 s4, s8, s6
	s_add_i32 s6, s0, 1
	s_cmp_ge_u32 s4, s5
	s_cselect_b32 s4, s6, s0
	s_max_u32 s5, s5, 1
	s_add_i32 s4, s4, 1
	s_waitcnt vmcnt(15)
	v_lshlrev_b16 v18, 8, v18
	s_waitcnt vmcnt(14)
	v_lshlrev_b16 v19, 8, v19
	;; [unrolled: 2-line block ×8, first 2 shown]
	s_waitcnt vmcnt(7)
	v_or_b32_e32 v18, v26, v18
	s_waitcnt vmcnt(6)
	v_or_b32_e32 v19, v27, v19
	;; [unrolled: 2-line block ×8, first 2 shown]
	v_and_b32_e32 v18, 0xffff, v18
	v_lshlrev_b32_e32 v19, 16, v19
	v_and_b32_e32 v20, 0xffff, v20
	v_lshlrev_b32_e32 v26, 16, v21
	;; [unrolled: 2-line block ×4, first 2 shown]
	v_or_b32_e32 v21, v18, v19
	v_or_b32_e32 v20, v20, v26
	;; [unrolled: 1-line block ×3, first 2 shown]
                                        ; implicit-def: $vgpr33
                                        ; implicit-def: $vgpr32
                                        ; implicit-def: $vgpr30
                                        ; implicit-def: $vgpr28
	s_delay_alu instid0(VALU_DEP_4)
	v_or_b32_e32 v18, v24, v25
	s_branch .LBB136_2
.LBB136_1:                              ;   in Loop: Header=BB136_2 Depth=1
	s_or_b32 exec_lo, exec_lo, s0
	s_delay_alu instid0(VALU_DEP_1)
	v_lshrrev_b32_e32 v40, 8, v33
	v_lshrrev_b32_e32 v41, 16, v33
	;; [unrolled: 1-line block ×3, first 2 shown]
	v_add_nc_u16 v39, v33, v21
	v_lshrrev_b32_e32 v21, 24, v32
	v_add_nc_u16 v40, v40, v37
	v_lshrrev_b32_e32 v37, 8, v32
	v_lshrrev_b32_e32 v36, 16, v32
	;; [unrolled: 1-line block ×4, first 2 shown]
	v_add_nc_u16 v25, v41, v25
	v_add_nc_u16 v38, v42, v38
	;; [unrolled: 1-line block ×4, first 2 shown]
	v_lshrrev_b32_e32 v20, 8, v43
	v_add_nc_u16 v35, v21, v35
	v_lshrrev_b32_e32 v21, 24, v43
	v_lshrrev_b32_e32 v28, 8, v30
	;; [unrolled: 1-line block ×3, first 2 shown]
	v_add_nc_u16 v24, v36, v24
	v_add_nc_u16 v43, v43, v19
	;; [unrolled: 1-line block ×7, first 2 shown]
	v_and_b32_e32 v18, 0xff, v39
	v_lshlrev_b16 v19, 8, v40
	v_lshlrev_b16 v20, 8, v38
	v_and_b32_e32 v21, 0xff, v25
	v_and_b32_e32 v45, 0xff, v41
	v_lshlrev_b16 v46, 8, v42
	v_add_nc_u16 v22, v34, v22
	v_add_nc_u16 v23, v47, v23
	v_or_b32_e32 v18, v18, v19
	v_or_b32_e32 v19, v21, v20
	;; [unrolled: 1-line block ×3, first 2 shown]
	v_lshlrev_b16 v21, 8, v35
	v_and_b32_e32 v45, 0xff, v24
	v_and_b32_e32 v46, 0xff, v43
	v_lshlrev_b16 v47, 8, v31
	v_lshlrev_b16 v48, 8, v29
	v_and_b32_e32 v49, 0xff, v26
	v_and_b32_e32 v50, 0xff, v44
	v_lshlrev_b16 v51, 8, v27
	v_lshlrev_b16 v52, 8, v23
	v_and_b32_e32 v53, 0xff, v22
	v_or_b32_e32 v21, v45, v21
	v_or_b32_e32 v45, v46, v47
	;; [unrolled: 1-line block ×5, first 2 shown]
	v_and_b32_e32 v18, 0xffff, v18
	v_lshlrev_b32_e32 v19, 16, v19
	v_and_b32_e32 v20, 0xffff, v20
	v_lshlrev_b32_e32 v49, 16, v21
	;; [unrolled: 2-line block ×4, first 2 shown]
	s_add_i32 s0, s4, s1
	v_or_b32_e32 v21, v18, v19
	v_or_b32_e32 v20, v20, v49
	;; [unrolled: 1-line block ×4, first 2 shown]
	s_add_i32 s5, s5, -1
	s_and_b32 s1, s0, 0xfff
	s_cmp_lg_u32 s5, 0
	s_barrier
	buffer_gl0_inv
	s_cbranch_scc0 .LBB136_4
.LBB136_2:                              ; =>This Inner Loop Header: Depth=1
	v_and_b32_e32 v22, 0xff, v32
	v_lshlrev_b16 v23, 8, v37
	v_lshrrev_b32_e32 v24, 16, v20
	v_and_b32_e32 v32, 0xff, v33
	v_and_b32_e32 v33, 0xff, v36
	;; [unrolled: 1-line block ×3, first 2 shown]
	v_or_b32_e32 v31, v22, v23
	v_and_b32_e32 v22, 0xffffff00, v20
	v_and_b32_e32 v23, 0xffffff00, v24
	v_lshlrev_b16 v29, 8, v28
	v_and_b32_e32 v34, 0xff, v34
	v_and_b32_e32 v36, 0xff, v31
	;; [unrolled: 1-line block ×3, first 2 shown]
	v_or_b32_e32 v37, v33, v23
	v_lshrrev_b32_e32 v23, 24, v18
	v_or_b32_e32 v38, v27, v29
	v_or_b32_e32 v42, v36, v22
	v_lshrrev_b32_e32 v22, 16, v18
	v_lshrrev_b32_e32 v27, 8, v18
	v_cmp_gt_u32_e64 s0, s1, v3
	v_and_b32_e32 v46, 0xff, v38
	v_and_b32_e32 v26, 0xffffff00, v21
	v_sub_nc_u16 v35, v23, v22
	v_and_b32_e32 v29, 0xffffff00, v22
	v_sub_nc_u16 v45, v27, v18
	v_or_b32_e32 v44, v46, v44
	v_or_b32_e32 v40, v32, v26
	v_lshlrev_b16 v35, 8, v35
	v_or_b32_e32 v29, v34, v29
	v_lshrrev_b32_e32 v26, 16, v19
	v_and_b32_e32 v44, 0xffff, v44
	v_and_b32_e32 v49, 0xffff, v31
	v_or_b32_e32 v34, v34, v35
	v_lshlrev_b16 v35, 8, v45
	v_and_b32_e32 v45, 0xff, v22
	v_and_b32_e32 v38, 0xffff, v38
	v_lshrrev_b32_e32 v28, 8, v20
	v_cndmask_b32_e64 v29, v29, v34, s0
	v_or_b32_e32 v35, v46, v35
	v_sub_nc_u16 v46, v22, v27
	v_cmp_gt_u32_e64 s0, s1, v5
	v_and_b32_e32 v34, 0xff, v18
	v_and_b32_e32 v48, 0xffffff00, v29
	;; [unrolled: 1-line block ×3, first 2 shown]
	v_lshrrev_b32_e32 v29, 24, v19
	v_and_b32_e32 v46, 0xff, v46
	v_and_b32_e32 v47, 0xff, v26
	v_or_b32_e32 v45, v45, v48
	v_cndmask_b32_e64 v31, v44, v35, s0
	v_sub_nc_u16 v35, v18, v29
	v_or_b32_e32 v44, v46, v48
	v_cmp_gt_u32_e64 s0, s1, v4
	v_and_b32_e32 v30, 0xff, v19
	v_and_b32_e32 v31, 0xffffff00, v31
	;; [unrolled: 1-line block ×3, first 2 shown]
	v_lshrrev_b32_e32 v25, 16, v21
	v_cndmask_b32_e64 v44, v45, v44, s0
	v_sub_nc_u16 v45, v29, v26
	v_or_b32_e32 v34, v34, v31
	v_or_b32_e32 v35, v35, v31
	v_lshrrev_b32_e32 v31, 8, v19
	v_lshl_or_b32 v44, v44, 16, v38
	v_lshlrev_b16 v38, 8, v45
	v_cmp_gt_u32_e64 s0, s1, v7
	v_and_b32_e32 v34, 0xffff, v34
	v_and_b32_e32 v35, 0xffff, v35
	v_sub_nc_u16 v45, v31, v19
	v_sub_nc_u16 v46, v26, v31
	v_cndmask_b32_e64 v38, v26, v38, s0
	v_cmp_gt_u32_e64 s0, s1, v6
	v_and_b32_e32 v39, 0xff, v20
	v_and_b32_e32 v43, 0xff, v24
	;; [unrolled: 1-line block ×4, first 2 shown]
	v_cndmask_b32_e64 v48, v34, v35, s0
	v_lshlrev_b16 v34, 8, v45
	v_lshrrev_b32_e32 v35, 24, v20
	v_cmp_gt_u32_e64 s0, s1, v9
	v_and_b32_e32 v45, 0xff, v46
	v_and_b32_e32 v40, 0xffff, v40
	ds_store_b8 v0, v23
	v_sub_nc_u16 v46, v35, v24
	v_cndmask_b32_e64 v34, v19, v34, s0
	v_sub_nc_u16 v50, v19, v35
	v_or_b32_e32 v45, v45, v38
	v_or_b32_e32 v38, v47, v38
	v_lshlrev_b16 v46, 8, v46
	v_and_b32_e32 v34, 0xffffff00, v34
	v_and_b32_e32 v47, 0xff, v50
	v_sub_nc_u16 v50, v28, v20
	v_cmp_gt_u32_e64 s0, s1, v8
	v_or_b32_e32 v33, v33, v46
	v_or_b32_e32 v30, v30, v34
	s_waitcnt lgkmcnt(0)
	s_barrier
	v_cndmask_b32_e64 v45, v38, v45, s0
	v_or_b32_e32 v38, v47, v34
	v_lshlrev_b16 v34, 8, v50
	v_cmp_gt_u32_e64 s0, s1, v11
	v_and_b32_e32 v30, 0xffff, v30
	buffer_gl0_inv
	v_and_b32_e32 v46, 0xffff, v38
	v_or_b32_e32 v34, v36, v34
	v_cndmask_b32_e64 v33, v37, v33, s0
	v_sub_nc_u16 v37, v24, v28
	v_lshrrev_b32_e32 v38, 24, v21
	v_cmp_gt_u32_e64 s0, s1, v10
	v_and_b32_e32 v34, 0xffff, v34
	v_and_b32_e32 v33, 0xffffff00, v33
	;; [unrolled: 1-line block ×4, first 2 shown]
	v_cndmask_b32_e64 v30, v30, v46, s0
	v_sub_nc_u16 v42, v38, v25
	v_cmp_gt_u32_e64 s0, s1, v13
	v_or_b32_e32 v36, v36, v33
	v_or_b32_e32 v33, v43, v33
	v_sub_nc_u16 v43, v20, v38
	v_lshlrev_b16 v42, 8, v42
	v_cndmask_b32_e64 v34, v37, v34, s0
	v_lshrrev_b32_e32 v37, 8, v21
	v_cmp_gt_u32_e64 s0, s1, v15
	v_and_b32_e32 v43, 0xff, v43
	s_delay_alu instid0(VALU_DEP_4) | instskip(NEXT) | instid1(VALU_DEP_4)
	v_and_b32_e32 v34, 0xffffff00, v34
	v_sub_nc_u16 v46, v37, v21
	s_delay_alu instid0(VALU_DEP_4)
	v_cndmask_b32_e64 v42, v25, v42, s0
	v_sub_nc_u16 v47, v25, v37
	v_cmp_gt_u32_e64 s0, s1, v12
	v_or_b32_e32 v39, v39, v34
	v_lshlrev_b16 v46, 8, v46
	v_and_b32_e32 v42, 0xffffff00, v42
	v_and_b32_e32 v47, 0xff, v47
	v_cndmask_b32_e64 v33, v33, v36, s0
	v_and_b32_e32 v36, 0xffff, v39
	v_or_b32_e32 v32, v32, v46
	v_or_b32_e32 v41, v41, v42
	;; [unrolled: 1-line block ×3, first 2 shown]
	v_cmp_gt_u32_e64 s0, s1, v16
	v_or_b32_e32 v34, v43, v34
	v_and_b32_e32 v32, 0xffff, v32
	v_lshl_or_b32 v33, v33, 16, v49
	s_delay_alu instid0(VALU_DEP_4) | instskip(SKIP_2) | instid1(VALU_DEP_2)
	v_cndmask_b32_e64 v39, v41, v39, s0
	v_cmp_gt_u32_e64 s0, s1, v17
	v_and_b32_e32 v34, 0xffff, v34
	v_cndmask_b32_e64 v32, v40, v32, s0
	v_cmp_gt_u32_e64 s0, s1, v14
	s_delay_alu instid0(VALU_DEP_2) | instskip(NEXT) | instid1(VALU_DEP_2)
	v_lshl_or_b32 v39, v39, 16, v32
	v_cndmask_b32_e64 v36, v36, v34, s0
	v_lshl_or_b32 v34, v45, 16, v30
	v_cmp_gt_u32_e64 s0, s1, v1
	v_and_or_b32 v30, 0xffff0000, v44, v48
	s_delay_alu instid0(VALU_DEP_4) | instskip(SKIP_3) | instid1(SALU_CYCLE_1)
	v_and_or_b32 v32, 0xffff0000, v33, v36
	v_perm_b32 v33, v21, v39, 0x3020104
	v_perm_b32 v43, v34, v34, 0x3020104
	s_and_b32 s6, vcc_lo, s0
	s_and_saveexec_b32 s0, s6
	s_cbranch_execz .LBB136_1
; %bb.3:                                ;   in Loop: Header=BB136_2 Depth=1
	ds_load_u8 v36, v2
	v_mov_b32_e32 v43, v34
	s_waitcnt lgkmcnt(0)
	v_sub_nc_u16 v36, v21, v36
	s_delay_alu instid0(VALU_DEP_1)
	v_perm_b32 v33, v36, v33, 0x3020104
	s_branch .LBB136_1
.LBB136_4:
	s_add_u32 s0, s2, s10
	s_addc_u32 s1, s3, 0
	v_add_co_u32 v0, s0, s0, v0
	s_delay_alu instid0(VALU_DEP_1)
	v_add_co_ci_u32_e64 v1, null, s1, 0, s0
	s_clause 0xf
	global_store_b8 v[0:1], v39, off
	global_store_b8 v[0:1], v40, off offset:256
	global_store_b8 v[0:1], v25, off offset:512
	;; [unrolled: 1-line block ×15, first 2 shown]
	s_nop 0
	s_sendmsg sendmsg(MSG_DEALLOC_VGPRS)
	s_endpgm
	.section	.rodata,"a",@progbits
	.p2align	6, 0x0
	.amdhsa_kernel _Z6kernelI26subtract_left_partial_tileLj256ELj16ELb0EJPaPiS1_jEEvDpT3_
		.amdhsa_group_segment_fixed_size 512
		.amdhsa_private_segment_fixed_size 0
		.amdhsa_kernarg_size 28
		.amdhsa_user_sgpr_count 15
		.amdhsa_user_sgpr_dispatch_ptr 0
		.amdhsa_user_sgpr_queue_ptr 0
		.amdhsa_user_sgpr_kernarg_segment_ptr 1
		.amdhsa_user_sgpr_dispatch_id 0
		.amdhsa_user_sgpr_private_segment_size 0
		.amdhsa_wavefront_size32 1
		.amdhsa_uses_dynamic_stack 0
		.amdhsa_enable_private_segment 0
		.amdhsa_system_sgpr_workgroup_id_x 1
		.amdhsa_system_sgpr_workgroup_id_y 0
		.amdhsa_system_sgpr_workgroup_id_z 0
		.amdhsa_system_sgpr_workgroup_info 0
		.amdhsa_system_vgpr_workitem_id 0
		.amdhsa_next_free_vgpr 54
		.amdhsa_next_free_sgpr 16
		.amdhsa_reserve_vcc 1
		.amdhsa_float_round_mode_32 0
		.amdhsa_float_round_mode_16_64 0
		.amdhsa_float_denorm_mode_32 3
		.amdhsa_float_denorm_mode_16_64 3
		.amdhsa_dx10_clamp 1
		.amdhsa_ieee_mode 1
		.amdhsa_fp16_overflow 0
		.amdhsa_workgroup_processor_mode 1
		.amdhsa_memory_ordered 1
		.amdhsa_forward_progress 0
		.amdhsa_shared_vgpr_count 0
		.amdhsa_exception_fp_ieee_invalid_op 0
		.amdhsa_exception_fp_denorm_src 0
		.amdhsa_exception_fp_ieee_div_zero 0
		.amdhsa_exception_fp_ieee_overflow 0
		.amdhsa_exception_fp_ieee_underflow 0
		.amdhsa_exception_fp_ieee_inexact 0
		.amdhsa_exception_int_div_zero 0
	.end_amdhsa_kernel
	.section	.text._Z6kernelI26subtract_left_partial_tileLj256ELj16ELb0EJPaPiS1_jEEvDpT3_,"axG",@progbits,_Z6kernelI26subtract_left_partial_tileLj256ELj16ELb0EJPaPiS1_jEEvDpT3_,comdat
.Lfunc_end136:
	.size	_Z6kernelI26subtract_left_partial_tileLj256ELj16ELb0EJPaPiS1_jEEvDpT3_, .Lfunc_end136-_Z6kernelI26subtract_left_partial_tileLj256ELj16ELb0EJPaPiS1_jEEvDpT3_
                                        ; -- End function
	.section	.AMDGPU.csdata,"",@progbits
; Kernel info:
; codeLenInByte = 2404
; NumSgprs: 18
; NumVgprs: 54
; ScratchSize: 0
; MemoryBound: 0
; FloatMode: 240
; IeeeMode: 1
; LDSByteSize: 512 bytes/workgroup (compile time only)
; SGPRBlocks: 2
; VGPRBlocks: 6
; NumSGPRsForWavesPerEU: 18
; NumVGPRsForWavesPerEU: 54
; Occupancy: 16
; WaveLimiterHint : 1
; COMPUTE_PGM_RSRC2:SCRATCH_EN: 0
; COMPUTE_PGM_RSRC2:USER_SGPR: 15
; COMPUTE_PGM_RSRC2:TRAP_HANDLER: 0
; COMPUTE_PGM_RSRC2:TGID_X_EN: 1
; COMPUTE_PGM_RSRC2:TGID_Y_EN: 0
; COMPUTE_PGM_RSRC2:TGID_Z_EN: 0
; COMPUTE_PGM_RSRC2:TIDIG_COMP_CNT: 0
	.section	.text._Z6kernelI26subtract_left_partial_tileLj256ELj32ELb0EJPaPiS1_jEEvDpT3_,"axG",@progbits,_Z6kernelI26subtract_left_partial_tileLj256ELj32ELb0EJPaPiS1_jEEvDpT3_,comdat
	.protected	_Z6kernelI26subtract_left_partial_tileLj256ELj32ELb0EJPaPiS1_jEEvDpT3_ ; -- Begin function _Z6kernelI26subtract_left_partial_tileLj256ELj32ELb0EJPaPiS1_jEEvDpT3_
	.globl	_Z6kernelI26subtract_left_partial_tileLj256ELj32ELb0EJPaPiS1_jEEvDpT3_
	.p2align	8
	.type	_Z6kernelI26subtract_left_partial_tileLj256ELj32ELb0EJPaPiS1_jEEvDpT3_,@function
_Z6kernelI26subtract_left_partial_tileLj256ELj32ELb0EJPaPiS1_jEEvDpT3_: ; @_Z6kernelI26subtract_left_partial_tileLj256ELj32ELb0EJPaPiS1_jEEvDpT3_
; %bb.0:
	s_clause 0x1
	s_load_b128 s[4:7], s[0:1], 0x0
	s_load_b64 s[2:3], s[0:1], 0x10
	s_lshl_b32 s8, s15, 13
	s_mov_b32 s10, s15
	s_mov_b32 s11, 0
	v_add_nc_u32_e32 v65, -1, v0
	s_waitcnt lgkmcnt(0)
	s_add_u32 s4, s4, s8
	s_addc_u32 s5, s5, 0
	v_add_co_u32 v1, s9, s4, v0
	s_delay_alu instid0(VALU_DEP_1)
	v_add_co_ci_u32_e64 v2, null, s5, 0, s9
	s_clause 0x7
	global_load_u8 v32, v0, s[4:5]
	global_load_u8 v31, v0, s[4:5] offset:256
	global_load_u8 v30, v0, s[4:5] offset:512
	;; [unrolled: 1-line block ×7, first 2 shown]
	v_add_co_u32 v33, vcc_lo, 0x1000, v1
	v_add_co_ci_u32_e32 v34, vcc_lo, 0, v2, vcc_lo
	s_clause 0x17
	global_load_u8 v24, v0, s[4:5] offset:2048
	global_load_u8 v23, v0, s[4:5] offset:2304
	;; [unrolled: 1-line block ×8, first 2 shown]
	global_load_u8 v16, v[33:34], off
	global_load_u8 v15, v[33:34], off offset:256
	global_load_u8 v14, v[33:34], off offset:512
	;; [unrolled: 1-line block ×15, first 2 shown]
	s_load_b32 s5, s[0:1], 0x18
	s_lshl_b64 s[0:1], s[10:11], 2
	v_cmp_ne_u32_e32 vcc_lo, 0, v0
	s_add_u32 s0, s6, s0
	s_addc_u32 s1, s7, s1
	s_load_b32 s1, s[0:1], 0x0
	s_waitcnt lgkmcnt(0)
	v_cvt_f32_u32_e32 v33, s5
	s_sub_i32 s6, 0, s5
	s_delay_alu instid0(VALU_DEP_1) | instskip(SKIP_2) | instid1(VALU_DEP_1)
	v_rcp_iflag_f32_e32 v33, v33
	s_waitcnt_depctr 0xfff
	v_mul_f32_e32 v33, 0x4f7ffffe, v33
	v_cvt_u32_f32_e32 v33, v33
	s_delay_alu instid0(VALU_DEP_1) | instskip(SKIP_1) | instid1(VALU_DEP_2)
	v_readfirstlane_b32 s4, v33
	v_lshlrev_b32_e32 v33, 5, v0
	s_mul_i32 s6, s6, s4
	s_delay_alu instid0(VALU_DEP_1)
	v_or_b32_e32 v34, 31, v33
	s_mul_hi_u32 s6, s4, s6
	v_or_b32_e32 v35, 30, v33
	s_add_i32 s4, s4, s6
	v_or_b32_e32 v36, 29, v33
	s_lshr_b32 s4, s4, 19
	v_or_b32_e32 v37, 28, v33
	s_mul_i32 s6, s4, s5
	s_add_i32 s7, s4, 1
	s_sub_i32 s6, 0x2000, s6
	v_or_b32_e32 v38, 27, v33
	s_sub_i32 s9, s6, s5
	s_cmp_ge_u32 s6, s5
	v_or_b32_e32 v39, 26, v33
	s_cselect_b32 s4, s7, s4
	s_cselect_b32 s6, s9, s6
	s_add_i32 s7, s4, 1
	s_cmp_ge_u32 s6, s5
	v_or_b32_e32 v40, 25, v33
	v_or_b32_e32 v41, 24, v33
	;; [unrolled: 1-line block ×25, first 2 shown]
	s_cselect_b32 s4, s7, s4
	s_max_u32 s5, s5, 1
	s_add_i32 s4, s4, 1
	s_branch .LBB137_2
.LBB137_1:                              ;   in Loop: Header=BB137_2 Depth=1
	s_or_b32 exec_lo, exec_lo, s0
	v_cmp_gt_u32_e64 s0, s1, v34
	s_add_i32 s5, s5, -1
	s_barrier
	buffer_gl0_inv
	v_cndmask_b32_e64 v67, 0, v2, s0
	v_cmp_gt_u32_e64 s0, s1, v35
	s_delay_alu instid0(VALU_DEP_2) | instskip(NEXT) | instid1(VALU_DEP_2)
	v_sub_nc_u16 v67, v1, v67
	v_cndmask_b32_e64 v68, 0, v3, s0
	v_cmp_gt_u32_e64 s0, s1, v36
	s_delay_alu instid0(VALU_DEP_3) | instskip(NEXT) | instid1(VALU_DEP_3)
	v_add_nc_u16 v1, v67, v1
	v_sub_nc_u16 v68, v2, v68
	s_delay_alu instid0(VALU_DEP_3) | instskip(SKIP_1) | instid1(VALU_DEP_3)
	v_cndmask_b32_e64 v69, 0, v4, s0
	v_cmp_gt_u32_e64 s0, s1, v37
	v_add_nc_u16 v2, v68, v2
	s_delay_alu instid0(VALU_DEP_3) | instskip(NEXT) | instid1(VALU_DEP_3)
	v_sub_nc_u16 v69, v3, v69
	v_cndmask_b32_e64 v70, 0, v5, s0
	v_cmp_gt_u32_e64 s0, s1, v38
	s_delay_alu instid0(VALU_DEP_3) | instskip(NEXT) | instid1(VALU_DEP_3)
	v_add_nc_u16 v3, v69, v3
	v_sub_nc_u16 v70, v4, v70
	s_delay_alu instid0(VALU_DEP_3) | instskip(SKIP_1) | instid1(VALU_DEP_3)
	v_cndmask_b32_e64 v71, 0, v6, s0
	v_cmp_gt_u32_e64 s0, s1, v39
	v_add_nc_u16 v4, v70, v4
	s_delay_alu instid0(VALU_DEP_3) | instskip(NEXT) | instid1(VALU_DEP_3)
	;; [unrolled: 11-line block ×12, first 2 shown]
	v_sub_nc_u16 v91, v30, v91
	v_cndmask_b32_e64 v92, 0, v32, s0
	v_cmp_gt_u32_e64 s0, s1, v59
	v_add_nc_u16 v32, v66, v32
	s_delay_alu instid0(VALU_DEP_3) | instskip(NEXT) | instid1(VALU_DEP_3)
	v_sub_nc_u16 v92, v31, v92
	v_cndmask_b32_e64 v93, 0, v27, s0
	v_cmp_gt_u32_e64 s0, s1, v60
	s_delay_alu instid0(VALU_DEP_3) | instskip(NEXT) | instid1(VALU_DEP_3)
	v_add_nc_u16 v31, v92, v31
	v_sub_nc_u16 v93, v26, v93
	s_delay_alu instid0(VALU_DEP_3) | instskip(SKIP_1) | instid1(VALU_DEP_2)
	v_cndmask_b32_e64 v94, 0, v28, s0
	v_cmp_gt_u32_e64 s0, s1, v62
	v_sub_nc_u16 v94, v27, v94
	s_delay_alu instid0(VALU_DEP_2) | instskip(SKIP_2) | instid1(VALU_DEP_4)
	v_cndmask_b32_e64 v66, 0, v30, s0
	v_cmp_gt_u32_e64 s0, s1, v61
	v_add_nc_u16 v30, v91, v30
	v_add_nc_u16 v27, v94, v27
	s_delay_alu instid0(VALU_DEP_4) | instskip(NEXT) | instid1(VALU_DEP_4)
	v_sub_nc_u16 v66, v29, v66
	v_cndmask_b32_e64 v92, 0, v29, s0
	v_cmp_gt_u32_e64 s0, s1, v58
	s_delay_alu instid0(VALU_DEP_3) | instskip(NEXT) | instid1(VALU_DEP_3)
	v_add_nc_u16 v29, v66, v29
	v_sub_nc_u16 v92, v28, v92
	s_delay_alu instid0(VALU_DEP_3) | instskip(SKIP_2) | instid1(VALU_DEP_3)
	v_cndmask_b32_e64 v91, 0, v26, s0
	v_add_nc_u16 v26, v93, v26
	s_add_i32 s0, s4, s1
	v_add_nc_u16 v28, v92, v28
	s_delay_alu instid0(VALU_DEP_3) | instskip(SKIP_2) | instid1(VALU_DEP_1)
	v_sub_nc_u16 v91, v25, v91
	s_and_b32 s1, s0, 0x1fff
	s_cmp_lg_u32 s5, 0
	v_add_nc_u16 v25, v91, v25
	s_cbranch_scc0 .LBB137_4
.LBB137_2:                              ; =>This Inner Loop Header: Depth=1
	v_cmp_gt_u32_e64 s0, s1, v33
	s_waitcnt vmcnt(31)
	v_mov_b32_e32 v66, v32
	s_waitcnt vmcnt(0)
	ds_store_b8 v0, v1
	s_waitcnt lgkmcnt(0)
	s_barrier
	s_and_b32 s6, vcc_lo, s0
	buffer_gl0_inv
	s_and_saveexec_b32 s0, s6
	s_cbranch_execz .LBB137_1
; %bb.3:                                ;   in Loop: Header=BB137_2 Depth=1
	ds_load_u8 v66, v65
	s_waitcnt lgkmcnt(0)
	v_sub_nc_u16 v66, v32, v66
	s_branch .LBB137_1
.LBB137_4:
	s_add_u32 s0, s2, s8
	s_addc_u32 s1, s3, 0
	v_add_co_u32 v33, s0, s0, v0
	s_delay_alu instid0(VALU_DEP_1)
	v_add_co_ci_u32_e64 v34, null, s1, 0, s0
	s_clause 0x7
	global_store_b8 v[33:34], v32, off
	global_store_b8 v[33:34], v31, off offset:256
	global_store_b8 v[33:34], v30, off offset:512
	;; [unrolled: 1-line block ×7, first 2 shown]
	v_add_co_u32 v25, vcc_lo, 0x1000, v33
	v_add_co_ci_u32_e32 v26, vcc_lo, 0, v34, vcc_lo
	s_clause 0x17
	global_store_b8 v[33:34], v24, off offset:2048
	global_store_b8 v[33:34], v23, off offset:2304
	;; [unrolled: 1-line block ×8, first 2 shown]
	global_store_b8 v[25:26], v16, off
	global_store_b8 v[25:26], v15, off offset:256
	global_store_b8 v[25:26], v14, off offset:512
	global_store_b8 v[25:26], v13, off offset:768
	global_store_b8 v[25:26], v12, off offset:1024
	global_store_b8 v[25:26], v11, off offset:1280
	global_store_b8 v[25:26], v10, off offset:1536
	global_store_b8 v[25:26], v9, off offset:1792
	global_store_b8 v[25:26], v8, off offset:2048
	global_store_b8 v[25:26], v7, off offset:2304
	global_store_b8 v[25:26], v6, off offset:2560
	global_store_b8 v[25:26], v5, off offset:2816
	global_store_b8 v[25:26], v4, off offset:3072
	global_store_b8 v[25:26], v3, off offset:3328
	global_store_b8 v[25:26], v2, off offset:3584
	global_store_b8 v[25:26], v1, off offset:3840
	s_nop 0
	s_sendmsg sendmsg(MSG_DEALLOC_VGPRS)
	s_endpgm
	.section	.rodata,"a",@progbits
	.p2align	6, 0x0
	.amdhsa_kernel _Z6kernelI26subtract_left_partial_tileLj256ELj32ELb0EJPaPiS1_jEEvDpT3_
		.amdhsa_group_segment_fixed_size 512
		.amdhsa_private_segment_fixed_size 0
		.amdhsa_kernarg_size 28
		.amdhsa_user_sgpr_count 15
		.amdhsa_user_sgpr_dispatch_ptr 0
		.amdhsa_user_sgpr_queue_ptr 0
		.amdhsa_user_sgpr_kernarg_segment_ptr 1
		.amdhsa_user_sgpr_dispatch_id 0
		.amdhsa_user_sgpr_private_segment_size 0
		.amdhsa_wavefront_size32 1
		.amdhsa_uses_dynamic_stack 0
		.amdhsa_enable_private_segment 0
		.amdhsa_system_sgpr_workgroup_id_x 1
		.amdhsa_system_sgpr_workgroup_id_y 0
		.amdhsa_system_sgpr_workgroup_id_z 0
		.amdhsa_system_sgpr_workgroup_info 0
		.amdhsa_system_vgpr_workitem_id 0
		.amdhsa_next_free_vgpr 95
		.amdhsa_next_free_sgpr 16
		.amdhsa_reserve_vcc 1
		.amdhsa_float_round_mode_32 0
		.amdhsa_float_round_mode_16_64 0
		.amdhsa_float_denorm_mode_32 3
		.amdhsa_float_denorm_mode_16_64 3
		.amdhsa_dx10_clamp 1
		.amdhsa_ieee_mode 1
		.amdhsa_fp16_overflow 0
		.amdhsa_workgroup_processor_mode 1
		.amdhsa_memory_ordered 1
		.amdhsa_forward_progress 0
		.amdhsa_shared_vgpr_count 0
		.amdhsa_exception_fp_ieee_invalid_op 0
		.amdhsa_exception_fp_denorm_src 0
		.amdhsa_exception_fp_ieee_div_zero 0
		.amdhsa_exception_fp_ieee_overflow 0
		.amdhsa_exception_fp_ieee_underflow 0
		.amdhsa_exception_fp_ieee_inexact 0
		.amdhsa_exception_int_div_zero 0
	.end_amdhsa_kernel
	.section	.text._Z6kernelI26subtract_left_partial_tileLj256ELj32ELb0EJPaPiS1_jEEvDpT3_,"axG",@progbits,_Z6kernelI26subtract_left_partial_tileLj256ELj32ELb0EJPaPiS1_jEEvDpT3_,comdat
.Lfunc_end137:
	.size	_Z6kernelI26subtract_left_partial_tileLj256ELj32ELb0EJPaPiS1_jEEvDpT3_, .Lfunc_end137-_Z6kernelI26subtract_left_partial_tileLj256ELj32ELb0EJPaPiS1_jEEvDpT3_
                                        ; -- End function
	.section	.AMDGPU.csdata,"",@progbits
; Kernel info:
; codeLenInByte = 2248
; NumSgprs: 18
; NumVgprs: 95
; ScratchSize: 0
; MemoryBound: 0
; FloatMode: 240
; IeeeMode: 1
; LDSByteSize: 512 bytes/workgroup (compile time only)
; SGPRBlocks: 2
; VGPRBlocks: 11
; NumSGPRsForWavesPerEU: 18
; NumVGPRsForWavesPerEU: 95
; Occupancy: 16
; WaveLimiterHint : 1
; COMPUTE_PGM_RSRC2:SCRATCH_EN: 0
; COMPUTE_PGM_RSRC2:USER_SGPR: 15
; COMPUTE_PGM_RSRC2:TRAP_HANDLER: 0
; COMPUTE_PGM_RSRC2:TGID_X_EN: 1
; COMPUTE_PGM_RSRC2:TGID_Y_EN: 0
; COMPUTE_PGM_RSRC2:TGID_Z_EN: 0
; COMPUTE_PGM_RSRC2:TIDIG_COMP_CNT: 0
	.section	.text._Z6kernelI26subtract_left_partial_tileLj256ELj1ELb0EJPxPiS1_jEEvDpT3_,"axG",@progbits,_Z6kernelI26subtract_left_partial_tileLj256ELj1ELb0EJPxPiS1_jEEvDpT3_,comdat
	.protected	_Z6kernelI26subtract_left_partial_tileLj256ELj1ELb0EJPxPiS1_jEEvDpT3_ ; -- Begin function _Z6kernelI26subtract_left_partial_tileLj256ELj1ELb0EJPxPiS1_jEEvDpT3_
	.globl	_Z6kernelI26subtract_left_partial_tileLj256ELj1ELb0EJPxPiS1_jEEvDpT3_
	.p2align	8
	.type	_Z6kernelI26subtract_left_partial_tileLj256ELj1ELb0EJPxPiS1_jEEvDpT3_,@function
_Z6kernelI26subtract_left_partial_tileLj256ELj1ELb0EJPxPiS1_jEEvDpT3_: ; @_Z6kernelI26subtract_left_partial_tileLj256ELj1ELb0EJPxPiS1_jEEvDpT3_
; %bb.0:
	s_clause 0x1
	s_load_b128 s[8:11], s[0:1], 0x0
	s_load_b64 s[4:5], s[0:1], 0x10
	s_lshl_b32 s12, s15, 8
	s_mov_b32 s13, 0
	v_lshlrev_b32_e32 v5, 3, v0
	s_lshl_b64 s[2:3], s[12:13], 3
	s_mov_b32 s6, s15
	s_mov_b32 s7, s13
	v_cmp_ne_u32_e32 vcc_lo, 0, v0
	v_add_nc_u32_e32 v6, -8, v5
	s_waitcnt lgkmcnt(0)
	s_add_u32 s8, s8, s2
	s_addc_u32 s9, s9, s3
	global_load_b64 v[1:2], v5, s[8:9]
	s_load_b32 s8, s[0:1], 0x18
	s_lshl_b64 s[0:1], s[6:7], 2
	s_delay_alu instid0(SALU_CYCLE_1)
	s_add_u32 s0, s10, s0
	s_addc_u32 s1, s11, s1
	s_load_b32 s1, s[0:1], 0x0
	s_waitcnt lgkmcnt(0)
	v_cvt_f32_u32_e32 v3, s8
	s_sub_i32 s7, 0, s8
	s_delay_alu instid0(VALU_DEP_1) | instskip(SKIP_2) | instid1(VALU_DEP_1)
	v_rcp_iflag_f32_e32 v3, v3
	s_waitcnt_depctr 0xfff
	v_mul_f32_e32 v3, 0x4f7ffffe, v3
	v_cvt_u32_f32_e32 v3, v3
	s_delay_alu instid0(VALU_DEP_1) | instskip(NEXT) | instid1(VALU_DEP_1)
	v_readfirstlane_b32 s6, v3
	s_mul_i32 s7, s7, s6
	s_delay_alu instid0(SALU_CYCLE_1) | instskip(NEXT) | instid1(SALU_CYCLE_1)
	s_mul_hi_u32 s7, s6, s7
	s_add_i32 s6, s6, s7
	s_delay_alu instid0(SALU_CYCLE_1) | instskip(NEXT) | instid1(SALU_CYCLE_1)
	s_lshr_b32 s6, s6, 24
	s_mul_i32 s0, s6, s8
	s_add_i32 s7, s6, 1
	s_sub_i32 s0, 0x100, s0
	s_delay_alu instid0(SALU_CYCLE_1)
	s_sub_i32 s9, s0, s8
	s_cmp_ge_u32 s0, s8
	s_cselect_b32 s6, s7, s6
	s_cselect_b32 s0, s9, s0
	s_add_i32 s7, s6, 1
	s_cmp_ge_u32 s0, s8
	s_cselect_b32 s6, s7, s6
	s_max_u32 s7, s8, 1
	s_add_i32 s6, s6, 1
	s_set_inst_prefetch_distance 0x1
	s_branch .LBB138_2
	.p2align	6
.LBB138_1:                              ;   in Loop: Header=BB138_2 Depth=1
	s_or_b32 exec_lo, exec_lo, s8
	s_delay_alu instid0(VALU_DEP_2)
	v_add_co_u32 v1, s0, v3, v1
	s_add_i32 s1, s6, s1
	v_add_co_ci_u32_e64 v2, s0, v4, v2, s0
	s_add_i32 s7, s7, -1
	s_and_b32 s1, s1, 0xff
	s_cmp_lg_u32 s7, 0
	s_barrier
	buffer_gl0_inv
	s_cbranch_scc0 .LBB138_4
.LBB138_2:                              ; =>This Inner Loop Header: Depth=1
	v_cmp_gt_u32_e64 s0, s1, v0
	s_waitcnt vmcnt(0)
	v_dual_mov_b32 v4, v2 :: v_dual_mov_b32 v3, v1
	ds_store_b64 v5, v[1:2]
	s_waitcnt lgkmcnt(0)
	s_and_b32 s0, vcc_lo, s0
	s_barrier
	buffer_gl0_inv
	s_and_saveexec_b32 s8, s0
	s_cbranch_execz .LBB138_1
; %bb.3:                                ;   in Loop: Header=BB138_2 Depth=1
	ds_load_b64 v[3:4], v6
	s_waitcnt lgkmcnt(0)
	v_sub_co_u32 v3, s0, v1, v3
	s_delay_alu instid0(VALU_DEP_1)
	v_sub_co_ci_u32_e64 v4, s0, v2, v4, s0
	s_branch .LBB138_1
.LBB138_4:
	s_set_inst_prefetch_distance 0x2
	v_lshlrev_b32_e32 v0, 3, v0
	s_add_u32 s0, s4, s2
	s_addc_u32 s1, s5, s3
	global_store_b64 v0, v[1:2], s[0:1]
	s_nop 0
	s_sendmsg sendmsg(MSG_DEALLOC_VGPRS)
	s_endpgm
	.section	.rodata,"a",@progbits
	.p2align	6, 0x0
	.amdhsa_kernel _Z6kernelI26subtract_left_partial_tileLj256ELj1ELb0EJPxPiS1_jEEvDpT3_
		.amdhsa_group_segment_fixed_size 4096
		.amdhsa_private_segment_fixed_size 0
		.amdhsa_kernarg_size 28
		.amdhsa_user_sgpr_count 15
		.amdhsa_user_sgpr_dispatch_ptr 0
		.amdhsa_user_sgpr_queue_ptr 0
		.amdhsa_user_sgpr_kernarg_segment_ptr 1
		.amdhsa_user_sgpr_dispatch_id 0
		.amdhsa_user_sgpr_private_segment_size 0
		.amdhsa_wavefront_size32 1
		.amdhsa_uses_dynamic_stack 0
		.amdhsa_enable_private_segment 0
		.amdhsa_system_sgpr_workgroup_id_x 1
		.amdhsa_system_sgpr_workgroup_id_y 0
		.amdhsa_system_sgpr_workgroup_id_z 0
		.amdhsa_system_sgpr_workgroup_info 0
		.amdhsa_system_vgpr_workitem_id 0
		.amdhsa_next_free_vgpr 7
		.amdhsa_next_free_sgpr 16
		.amdhsa_reserve_vcc 1
		.amdhsa_float_round_mode_32 0
		.amdhsa_float_round_mode_16_64 0
		.amdhsa_float_denorm_mode_32 3
		.amdhsa_float_denorm_mode_16_64 3
		.amdhsa_dx10_clamp 1
		.amdhsa_ieee_mode 1
		.amdhsa_fp16_overflow 0
		.amdhsa_workgroup_processor_mode 1
		.amdhsa_memory_ordered 1
		.amdhsa_forward_progress 0
		.amdhsa_shared_vgpr_count 0
		.amdhsa_exception_fp_ieee_invalid_op 0
		.amdhsa_exception_fp_denorm_src 0
		.amdhsa_exception_fp_ieee_div_zero 0
		.amdhsa_exception_fp_ieee_overflow 0
		.amdhsa_exception_fp_ieee_underflow 0
		.amdhsa_exception_fp_ieee_inexact 0
		.amdhsa_exception_int_div_zero 0
	.end_amdhsa_kernel
	.section	.text._Z6kernelI26subtract_left_partial_tileLj256ELj1ELb0EJPxPiS1_jEEvDpT3_,"axG",@progbits,_Z6kernelI26subtract_left_partial_tileLj256ELj1ELb0EJPxPiS1_jEEvDpT3_,comdat
.Lfunc_end138:
	.size	_Z6kernelI26subtract_left_partial_tileLj256ELj1ELb0EJPxPiS1_jEEvDpT3_, .Lfunc_end138-_Z6kernelI26subtract_left_partial_tileLj256ELj1ELb0EJPxPiS1_jEEvDpT3_
                                        ; -- End function
	.section	.AMDGPU.csdata,"",@progbits
; Kernel info:
; codeLenInByte = 424
; NumSgprs: 18
; NumVgprs: 7
; ScratchSize: 0
; MemoryBound: 0
; FloatMode: 240
; IeeeMode: 1
; LDSByteSize: 4096 bytes/workgroup (compile time only)
; SGPRBlocks: 2
; VGPRBlocks: 0
; NumSGPRsForWavesPerEU: 18
; NumVGPRsForWavesPerEU: 7
; Occupancy: 16
; WaveLimiterHint : 0
; COMPUTE_PGM_RSRC2:SCRATCH_EN: 0
; COMPUTE_PGM_RSRC2:USER_SGPR: 15
; COMPUTE_PGM_RSRC2:TRAP_HANDLER: 0
; COMPUTE_PGM_RSRC2:TGID_X_EN: 1
; COMPUTE_PGM_RSRC2:TGID_Y_EN: 0
; COMPUTE_PGM_RSRC2:TGID_Z_EN: 0
; COMPUTE_PGM_RSRC2:TIDIG_COMP_CNT: 0
	.section	.text._Z6kernelI26subtract_left_partial_tileLj256ELj3ELb0EJPxPiS1_jEEvDpT3_,"axG",@progbits,_Z6kernelI26subtract_left_partial_tileLj256ELj3ELb0EJPxPiS1_jEEvDpT3_,comdat
	.protected	_Z6kernelI26subtract_left_partial_tileLj256ELj3ELb0EJPxPiS1_jEEvDpT3_ ; -- Begin function _Z6kernelI26subtract_left_partial_tileLj256ELj3ELb0EJPxPiS1_jEEvDpT3_
	.globl	_Z6kernelI26subtract_left_partial_tileLj256ELj3ELb0EJPxPiS1_jEEvDpT3_
	.p2align	8
	.type	_Z6kernelI26subtract_left_partial_tileLj256ELj3ELb0EJPxPiS1_jEEvDpT3_,@function
_Z6kernelI26subtract_left_partial_tileLj256ELj3ELb0EJPxPiS1_jEEvDpT3_: ; @_Z6kernelI26subtract_left_partial_tileLj256ELj3ELb0EJPxPiS1_jEEvDpT3_
; %bb.0:
	s_clause 0x1
	s_load_b128 s[4:7], s[0:1], 0x0
	s_load_b64 s[8:9], s[0:1], 0x10
	s_mov_b32 s13, 0
	s_mul_i32 s12, s15, 0x300
	v_lshlrev_b32_e32 v9, 3, v0
	s_lshl_b64 s[2:3], s[12:13], 3
	s_load_b32 s12, s[0:1], 0x18
	s_mov_b32 s10, s15
	v_mul_u32_u24_e32 v10, 3, v0
	v_mad_u32_u24 v11, v0, 3, 2
	v_mad_u32_u24 v12, v0, 3, 1
	v_add_nc_u32_e32 v13, -8, v9
	s_waitcnt lgkmcnt(0)
	s_add_u32 s4, s4, s2
	s_addc_u32 s5, s5, s3
	v_add_co_u32 v1, s11, s4, v9
	s_delay_alu instid0(VALU_DEP_1) | instskip(SKIP_1) | instid1(VALU_DEP_3)
	v_add_co_ci_u32_e64 v2, null, s5, 0, s11
	v_cvt_f32_u32_e32 v7, s12
	v_add_co_u32 v5, vcc_lo, 0x1000, v1
	s_delay_alu instid0(VALU_DEP_3) | instskip(NEXT) | instid1(VALU_DEP_3)
	v_add_co_ci_u32_e32 v6, vcc_lo, 0, v2, vcc_lo
	v_rcp_iflag_f32_e32 v7, v7
	s_clause 0x2
	global_load_b64 v[1:2], v9, s[4:5]
	global_load_b64 v[3:4], v9, s[4:5] offset:2048
	global_load_b64 v[5:6], v[5:6], off
	s_mov_b32 s11, s13
	v_cmp_ne_u32_e32 vcc_lo, 0, v0
	s_lshl_b64 s[0:1], s[10:11], 2
	s_delay_alu instid0(SALU_CYCLE_1) | instskip(SKIP_3) | instid1(VALU_DEP_1)
	s_add_u32 s0, s6, s0
	s_addc_u32 s1, s7, s1
	s_sub_i32 s5, 0, s12
	v_mul_f32_e32 v7, 0x4f7ffffe, v7
	v_cvt_u32_f32_e32 v7, v7
	s_delay_alu instid0(VALU_DEP_1) | instskip(NEXT) | instid1(VALU_DEP_1)
	v_readfirstlane_b32 s4, v7
	s_mul_i32 s5, s5, s4
	s_delay_alu instid0(SALU_CYCLE_1) | instskip(NEXT) | instid1(SALU_CYCLE_1)
	s_mul_hi_u32 s5, s4, s5
	s_add_i32 s4, s4, s5
	s_delay_alu instid0(SALU_CYCLE_1) | instskip(SKIP_4) | instid1(SALU_CYCLE_1)
	s_mul_hi_u32 s5, s4, 0x300
	s_load_b32 s4, s[0:1], 0x0
	s_mul_i32 s6, s5, s12
	s_add_i32 s1, s5, 1
	s_sub_i32 s0, 0x300, s6
	s_sub_i32 s6, s0, s12
	s_cmp_ge_u32 s0, s12
	s_cselect_b32 s1, s1, s5
	s_cselect_b32 s0, s6, s0
	s_add_i32 s5, s1, 1
	s_cmp_ge_u32 s0, s12
	s_cselect_b32 s5, s5, s1
	s_max_u32 s6, s12, 1
	s_add_i32 s5, s5, 1
	s_branch .LBB139_2
.LBB139_1:                              ;   in Loop: Header=BB139_2 Depth=1
	s_or_b32 exec_lo, exec_lo, s1
	v_cmp_gt_u32_e64 s0, s4, v11
	v_cmp_gt_u32_e64 s1, s4, v12
	s_add_i32 s4, s5, s4
	s_add_i32 s6, s6, -1
	s_delay_alu instid0(VALU_DEP_2)
	v_cndmask_b32_e64 v15, 0, v3, s0
	v_cndmask_b32_e64 v14, 0, v4, s0
	;; [unrolled: 1-line block ×4, first 2 shown]
	s_mul_hi_u32 s1, s4, 0xaaaaaaab
	v_sub_co_u32 v15, s0, v5, v15
	s_delay_alu instid0(VALU_DEP_1) | instskip(SKIP_1) | instid1(VALU_DEP_1)
	v_sub_co_ci_u32_e64 v14, s0, v6, v14, s0
	v_sub_co_u32 v17, s0, v3, v17
	v_sub_co_ci_u32_e64 v16, s0, v4, v16, s0
	v_add_co_u32 v1, s0, v7, v1
	s_delay_alu instid0(VALU_DEP_1) | instskip(NEXT) | instid1(VALU_DEP_4)
	v_add_co_ci_u32_e64 v2, s0, v8, v2, s0
	v_add_co_u32 v3, s0, v17, v3
	s_delay_alu instid0(VALU_DEP_1)
	v_add_co_ci_u32_e64 v4, s0, v16, v4, s0
	s_lshr_b32 s1, s1, 9
	v_add_co_u32 v5, s0, v15, v5
	s_mulk_i32 s1, 0x300
	v_add_co_ci_u32_e64 v6, s0, v14, v6, s0
	s_sub_i32 s4, s4, s1
	s_cmp_lg_u32 s6, 0
	s_barrier
	buffer_gl0_inv
	s_cbranch_scc0 .LBB139_4
.LBB139_2:                              ; =>This Inner Loop Header: Depth=1
	s_waitcnt lgkmcnt(0)
	v_cmp_gt_u32_e64 s0, s4, v10
	s_waitcnt vmcnt(2)
	v_dual_mov_b32 v8, v2 :: v_dual_mov_b32 v7, v1
	s_waitcnt vmcnt(0)
	ds_store_b64 v9, v[5:6]
	s_waitcnt lgkmcnt(0)
	s_and_b32 s0, vcc_lo, s0
	s_barrier
	buffer_gl0_inv
	s_and_saveexec_b32 s1, s0
	s_cbranch_execz .LBB139_1
; %bb.3:                                ;   in Loop: Header=BB139_2 Depth=1
	ds_load_b64 v[7:8], v13
	s_waitcnt lgkmcnt(0)
	v_sub_co_u32 v7, s0, v1, v7
	s_delay_alu instid0(VALU_DEP_1)
	v_sub_co_ci_u32_e64 v8, s0, v2, v8, s0
	s_branch .LBB139_1
.LBB139_4:
	v_lshlrev_b32_e32 v0, 3, v0
	s_add_u32 s0, s8, s2
	s_addc_u32 s1, s9, s3
	s_delay_alu instid0(VALU_DEP_1) | instskip(NEXT) | instid1(VALU_DEP_1)
	v_add_co_u32 v7, s2, s0, v0
	v_add_co_ci_u32_e64 v8, null, s1, 0, s2
	s_delay_alu instid0(VALU_DEP_2) | instskip(NEXT) | instid1(VALU_DEP_2)
	v_add_co_u32 v7, vcc_lo, 0x1000, v7
	v_add_co_ci_u32_e32 v8, vcc_lo, 0, v8, vcc_lo
	s_clause 0x2
	global_store_b64 v0, v[1:2], s[0:1]
	global_store_b64 v0, v[3:4], s[0:1] offset:2048
	global_store_b64 v[7:8], v[5:6], off
	s_nop 0
	s_sendmsg sendmsg(MSG_DEALLOC_VGPRS)
	s_endpgm
	.section	.rodata,"a",@progbits
	.p2align	6, 0x0
	.amdhsa_kernel _Z6kernelI26subtract_left_partial_tileLj256ELj3ELb0EJPxPiS1_jEEvDpT3_
		.amdhsa_group_segment_fixed_size 4096
		.amdhsa_private_segment_fixed_size 0
		.amdhsa_kernarg_size 28
		.amdhsa_user_sgpr_count 15
		.amdhsa_user_sgpr_dispatch_ptr 0
		.amdhsa_user_sgpr_queue_ptr 0
		.amdhsa_user_sgpr_kernarg_segment_ptr 1
		.amdhsa_user_sgpr_dispatch_id 0
		.amdhsa_user_sgpr_private_segment_size 0
		.amdhsa_wavefront_size32 1
		.amdhsa_uses_dynamic_stack 0
		.amdhsa_enable_private_segment 0
		.amdhsa_system_sgpr_workgroup_id_x 1
		.amdhsa_system_sgpr_workgroup_id_y 0
		.amdhsa_system_sgpr_workgroup_id_z 0
		.amdhsa_system_sgpr_workgroup_info 0
		.amdhsa_system_vgpr_workitem_id 0
		.amdhsa_next_free_vgpr 18
		.amdhsa_next_free_sgpr 16
		.amdhsa_reserve_vcc 1
		.amdhsa_float_round_mode_32 0
		.amdhsa_float_round_mode_16_64 0
		.amdhsa_float_denorm_mode_32 3
		.amdhsa_float_denorm_mode_16_64 3
		.amdhsa_dx10_clamp 1
		.amdhsa_ieee_mode 1
		.amdhsa_fp16_overflow 0
		.amdhsa_workgroup_processor_mode 1
		.amdhsa_memory_ordered 1
		.amdhsa_forward_progress 0
		.amdhsa_shared_vgpr_count 0
		.amdhsa_exception_fp_ieee_invalid_op 0
		.amdhsa_exception_fp_denorm_src 0
		.amdhsa_exception_fp_ieee_div_zero 0
		.amdhsa_exception_fp_ieee_overflow 0
		.amdhsa_exception_fp_ieee_underflow 0
		.amdhsa_exception_fp_ieee_inexact 0
		.amdhsa_exception_int_div_zero 0
	.end_amdhsa_kernel
	.section	.text._Z6kernelI26subtract_left_partial_tileLj256ELj3ELb0EJPxPiS1_jEEvDpT3_,"axG",@progbits,_Z6kernelI26subtract_left_partial_tileLj256ELj3ELb0EJPxPiS1_jEEvDpT3_,comdat
.Lfunc_end139:
	.size	_Z6kernelI26subtract_left_partial_tileLj256ELj3ELb0EJPxPiS1_jEEvDpT3_, .Lfunc_end139-_Z6kernelI26subtract_left_partial_tileLj256ELj3ELb0EJPxPiS1_jEEvDpT3_
                                        ; -- End function
	.section	.AMDGPU.csdata,"",@progbits
; Kernel info:
; codeLenInByte = 692
; NumSgprs: 18
; NumVgprs: 18
; ScratchSize: 0
; MemoryBound: 0
; FloatMode: 240
; IeeeMode: 1
; LDSByteSize: 4096 bytes/workgroup (compile time only)
; SGPRBlocks: 2
; VGPRBlocks: 2
; NumSGPRsForWavesPerEU: 18
; NumVGPRsForWavesPerEU: 18
; Occupancy: 16
; WaveLimiterHint : 1
; COMPUTE_PGM_RSRC2:SCRATCH_EN: 0
; COMPUTE_PGM_RSRC2:USER_SGPR: 15
; COMPUTE_PGM_RSRC2:TRAP_HANDLER: 0
; COMPUTE_PGM_RSRC2:TGID_X_EN: 1
; COMPUTE_PGM_RSRC2:TGID_Y_EN: 0
; COMPUTE_PGM_RSRC2:TGID_Z_EN: 0
; COMPUTE_PGM_RSRC2:TIDIG_COMP_CNT: 0
	.section	.text._Z6kernelI26subtract_left_partial_tileLj256ELj4ELb0EJPxPiS1_jEEvDpT3_,"axG",@progbits,_Z6kernelI26subtract_left_partial_tileLj256ELj4ELb0EJPxPiS1_jEEvDpT3_,comdat
	.protected	_Z6kernelI26subtract_left_partial_tileLj256ELj4ELb0EJPxPiS1_jEEvDpT3_ ; -- Begin function _Z6kernelI26subtract_left_partial_tileLj256ELj4ELb0EJPxPiS1_jEEvDpT3_
	.globl	_Z6kernelI26subtract_left_partial_tileLj256ELj4ELb0EJPxPiS1_jEEvDpT3_
	.p2align	8
	.type	_Z6kernelI26subtract_left_partial_tileLj256ELj4ELb0EJPxPiS1_jEEvDpT3_,@function
_Z6kernelI26subtract_left_partial_tileLj256ELj4ELb0EJPxPiS1_jEEvDpT3_: ; @_Z6kernelI26subtract_left_partial_tileLj256ELj4ELb0EJPxPiS1_jEEvDpT3_
; %bb.0:
	s_clause 0x1
	s_load_b128 s[4:7], s[0:1], 0x0
	s_load_b64 s[8:9], s[0:1], 0x10
	s_mov_b32 s13, 0
	s_lshl_b32 s12, s15, 10
	v_lshlrev_b32_e32 v11, 3, v0
	s_lshl_b64 s[2:3], s[12:13], 3
	s_load_b32 s12, s[0:1], 0x18
	s_mov_b32 s10, s15
	v_lshlrev_b32_e32 v12, 2, v0
	v_add_nc_u32_e32 v16, -8, v11
	s_delay_alu instid0(VALU_DEP_2)
	v_or_b32_e32 v13, 3, v12
	v_or_b32_e32 v14, 2, v12
	;; [unrolled: 1-line block ×3, first 2 shown]
	s_waitcnt lgkmcnt(0)
	s_add_u32 s4, s4, s2
	s_addc_u32 s5, s5, s3
	v_add_co_u32 v1, s11, s4, v11
	s_delay_alu instid0(VALU_DEP_1) | instskip(SKIP_1) | instid1(VALU_DEP_3)
	v_add_co_ci_u32_e64 v2, null, s5, 0, s11
	v_cvt_f32_u32_e32 v9, s12
	v_add_co_u32 v7, vcc_lo, 0x1000, v1
	s_delay_alu instid0(VALU_DEP_3)
	v_add_co_ci_u32_e32 v8, vcc_lo, 0, v2, vcc_lo
	s_clause 0x3
	global_load_b64 v[1:2], v11, s[4:5]
	global_load_b64 v[3:4], v11, s[4:5] offset:2048
	global_load_b64 v[5:6], v[7:8], off
	global_load_b64 v[7:8], v[7:8], off offset:2048
	v_rcp_iflag_f32_e32 v9, v9
	s_mov_b32 s11, s13
	v_cmp_ne_u32_e32 vcc_lo, 0, v0
	s_lshl_b64 s[0:1], s[10:11], 2
	s_delay_alu instid0(SALU_CYCLE_1) | instskip(SKIP_4) | instid1(VALU_DEP_1)
	s_add_u32 s0, s6, s0
	s_addc_u32 s1, s7, s1
	s_sub_i32 s5, 0, s12
	s_waitcnt_depctr 0xfff
	v_mul_f32_e32 v9, 0x4f7ffffe, v9
	v_cvt_u32_f32_e32 v9, v9
	s_delay_alu instid0(VALU_DEP_1) | instskip(NEXT) | instid1(VALU_DEP_1)
	v_readfirstlane_b32 s4, v9
	s_mul_i32 s5, s5, s4
	s_delay_alu instid0(SALU_CYCLE_1) | instskip(NEXT) | instid1(SALU_CYCLE_1)
	s_mul_hi_u32 s5, s4, s5
	s_add_i32 s4, s4, s5
	s_delay_alu instid0(SALU_CYCLE_1) | instskip(SKIP_4) | instid1(SALU_CYCLE_1)
	s_lshr_b32 s5, s4, 22
	s_load_b32 s4, s[0:1], 0x0
	s_mul_i32 s6, s5, s12
	s_add_i32 s1, s5, 1
	s_sub_i32 s0, 0x400, s6
	s_sub_i32 s6, s0, s12
	s_cmp_ge_u32 s0, s12
	s_cselect_b32 s1, s1, s5
	s_cselect_b32 s0, s6, s0
	s_add_i32 s5, s1, 1
	s_cmp_ge_u32 s0, s12
	s_cselect_b32 s5, s5, s1
	s_max_u32 s6, s12, 1
	s_add_i32 s5, s5, 1
	s_branch .LBB140_2
.LBB140_1:                              ;   in Loop: Header=BB140_2 Depth=1
	s_or_b32 exec_lo, exec_lo, s1
	v_cmp_gt_u32_e64 s0, s4, v13
	v_cmp_gt_u32_e64 s1, s4, v14
	s_add_i32 s6, s6, -1
	s_barrier
	s_delay_alu instid0(VALU_DEP_2)
	v_cndmask_b32_e64 v17, 0, v6, s0
	v_cndmask_b32_e64 v18, 0, v5, s0
	v_cmp_gt_u32_e64 s0, s4, v15
	v_cndmask_b32_e64 v20, 0, v3, s1
	v_cndmask_b32_e64 v19, 0, v4, s1
	buffer_gl0_inv
	v_sub_co_u32 v18, s1, v7, v18
	v_cndmask_b32_e64 v22, 0, v1, s0
	v_cndmask_b32_e64 v21, 0, v2, s0
	v_sub_co_u32 v20, s0, v5, v20
	s_delay_alu instid0(VALU_DEP_1) | instskip(NEXT) | instid1(VALU_DEP_4)
	v_sub_co_ci_u32_e64 v19, s0, v6, v19, s0
	v_sub_co_u32 v22, s0, v3, v22
	s_delay_alu instid0(VALU_DEP_1) | instskip(SKIP_1) | instid1(VALU_DEP_1)
	v_sub_co_ci_u32_e64 v21, s0, v4, v21, s0
	v_add_co_u32 v1, s0, v9, v1
	v_add_co_ci_u32_e64 v2, s0, v10, v2, s0
	s_delay_alu instid0(VALU_DEP_4) | instskip(NEXT) | instid1(VALU_DEP_1)
	v_add_co_u32 v3, s0, v22, v3
	v_add_co_ci_u32_e64 v4, s0, v21, v4, s0
	v_sub_co_ci_u32_e64 v17, s1, v8, v17, s1
	v_add_co_u32 v5, s0, v20, v5
	s_delay_alu instid0(VALU_DEP_1)
	v_add_co_ci_u32_e64 v6, s0, v19, v6, s0
	v_add_co_u32 v7, s0, v18, v7
	s_add_i32 s1, s5, s4
	v_add_co_ci_u32_e64 v8, s0, v17, v8, s0
	s_and_b32 s4, s1, 0x3ff
	s_cmp_lg_u32 s6, 0
	s_cbranch_scc0 .LBB140_4
.LBB140_2:                              ; =>This Inner Loop Header: Depth=1
	s_waitcnt lgkmcnt(0)
	v_cmp_gt_u32_e64 s0, s4, v12
	s_waitcnt vmcnt(3)
	v_dual_mov_b32 v10, v2 :: v_dual_mov_b32 v9, v1
	s_waitcnt vmcnt(0)
	ds_store_b64 v11, v[7:8]
	s_waitcnt lgkmcnt(0)
	s_and_b32 s0, vcc_lo, s0
	s_barrier
	buffer_gl0_inv
	s_and_saveexec_b32 s1, s0
	s_cbranch_execz .LBB140_1
; %bb.3:                                ;   in Loop: Header=BB140_2 Depth=1
	ds_load_b64 v[9:10], v16
	s_waitcnt lgkmcnt(0)
	v_sub_co_u32 v9, s0, v1, v9
	s_delay_alu instid0(VALU_DEP_1)
	v_sub_co_ci_u32_e64 v10, s0, v2, v10, s0
	s_branch .LBB140_1
.LBB140_4:
	v_lshlrev_b32_e32 v0, 3, v0
	s_add_u32 s0, s8, s2
	s_addc_u32 s1, s9, s3
	s_delay_alu instid0(VALU_DEP_1) | instskip(NEXT) | instid1(VALU_DEP_1)
	v_add_co_u32 v9, s2, s0, v0
	v_add_co_ci_u32_e64 v10, null, s1, 0, s2
	s_delay_alu instid0(VALU_DEP_2) | instskip(NEXT) | instid1(VALU_DEP_2)
	v_add_co_u32 v9, vcc_lo, 0x1000, v9
	v_add_co_ci_u32_e32 v10, vcc_lo, 0, v10, vcc_lo
	s_clause 0x3
	global_store_b64 v0, v[1:2], s[0:1]
	global_store_b64 v0, v[3:4], s[0:1] offset:2048
	global_store_b64 v[9:10], v[5:6], off
	global_store_b64 v[9:10], v[7:8], off offset:2048
	s_nop 0
	s_sendmsg sendmsg(MSG_DEALLOC_VGPRS)
	s_endpgm
	.section	.rodata,"a",@progbits
	.p2align	6, 0x0
	.amdhsa_kernel _Z6kernelI26subtract_left_partial_tileLj256ELj4ELb0EJPxPiS1_jEEvDpT3_
		.amdhsa_group_segment_fixed_size 4096
		.amdhsa_private_segment_fixed_size 0
		.amdhsa_kernarg_size 28
		.amdhsa_user_sgpr_count 15
		.amdhsa_user_sgpr_dispatch_ptr 0
		.amdhsa_user_sgpr_queue_ptr 0
		.amdhsa_user_sgpr_kernarg_segment_ptr 1
		.amdhsa_user_sgpr_dispatch_id 0
		.amdhsa_user_sgpr_private_segment_size 0
		.amdhsa_wavefront_size32 1
		.amdhsa_uses_dynamic_stack 0
		.amdhsa_enable_private_segment 0
		.amdhsa_system_sgpr_workgroup_id_x 1
		.amdhsa_system_sgpr_workgroup_id_y 0
		.amdhsa_system_sgpr_workgroup_id_z 0
		.amdhsa_system_sgpr_workgroup_info 0
		.amdhsa_system_vgpr_workitem_id 0
		.amdhsa_next_free_vgpr 23
		.amdhsa_next_free_sgpr 16
		.amdhsa_reserve_vcc 1
		.amdhsa_float_round_mode_32 0
		.amdhsa_float_round_mode_16_64 0
		.amdhsa_float_denorm_mode_32 3
		.amdhsa_float_denorm_mode_16_64 3
		.amdhsa_dx10_clamp 1
		.amdhsa_ieee_mode 1
		.amdhsa_fp16_overflow 0
		.amdhsa_workgroup_processor_mode 1
		.amdhsa_memory_ordered 1
		.amdhsa_forward_progress 0
		.amdhsa_shared_vgpr_count 0
		.amdhsa_exception_fp_ieee_invalid_op 0
		.amdhsa_exception_fp_denorm_src 0
		.amdhsa_exception_fp_ieee_div_zero 0
		.amdhsa_exception_fp_ieee_overflow 0
		.amdhsa_exception_fp_ieee_underflow 0
		.amdhsa_exception_fp_ieee_inexact 0
		.amdhsa_exception_int_div_zero 0
	.end_amdhsa_kernel
	.section	.text._Z6kernelI26subtract_left_partial_tileLj256ELj4ELb0EJPxPiS1_jEEvDpT3_,"axG",@progbits,_Z6kernelI26subtract_left_partial_tileLj256ELj4ELb0EJPxPiS1_jEEvDpT3_,comdat
.Lfunc_end140:
	.size	_Z6kernelI26subtract_left_partial_tileLj256ELj4ELb0EJPxPiS1_jEEvDpT3_, .Lfunc_end140-_Z6kernelI26subtract_left_partial_tileLj256ELj4ELb0EJPxPiS1_jEEvDpT3_
                                        ; -- End function
	.section	.AMDGPU.csdata,"",@progbits
; Kernel info:
; codeLenInByte = 752
; NumSgprs: 18
; NumVgprs: 23
; ScratchSize: 0
; MemoryBound: 0
; FloatMode: 240
; IeeeMode: 1
; LDSByteSize: 4096 bytes/workgroup (compile time only)
; SGPRBlocks: 2
; VGPRBlocks: 2
; NumSGPRsForWavesPerEU: 18
; NumVGPRsForWavesPerEU: 23
; Occupancy: 16
; WaveLimiterHint : 1
; COMPUTE_PGM_RSRC2:SCRATCH_EN: 0
; COMPUTE_PGM_RSRC2:USER_SGPR: 15
; COMPUTE_PGM_RSRC2:TRAP_HANDLER: 0
; COMPUTE_PGM_RSRC2:TGID_X_EN: 1
; COMPUTE_PGM_RSRC2:TGID_Y_EN: 0
; COMPUTE_PGM_RSRC2:TGID_Z_EN: 0
; COMPUTE_PGM_RSRC2:TIDIG_COMP_CNT: 0
	.section	.text._Z6kernelI26subtract_left_partial_tileLj256ELj8ELb0EJPxPiS1_jEEvDpT3_,"axG",@progbits,_Z6kernelI26subtract_left_partial_tileLj256ELj8ELb0EJPxPiS1_jEEvDpT3_,comdat
	.protected	_Z6kernelI26subtract_left_partial_tileLj256ELj8ELb0EJPxPiS1_jEEvDpT3_ ; -- Begin function _Z6kernelI26subtract_left_partial_tileLj256ELj8ELb0EJPxPiS1_jEEvDpT3_
	.globl	_Z6kernelI26subtract_left_partial_tileLj256ELj8ELb0EJPxPiS1_jEEvDpT3_
	.p2align	8
	.type	_Z6kernelI26subtract_left_partial_tileLj256ELj8ELb0EJPxPiS1_jEEvDpT3_,@function
_Z6kernelI26subtract_left_partial_tileLj256ELj8ELb0EJPxPiS1_jEEvDpT3_: ; @_Z6kernelI26subtract_left_partial_tileLj256ELj8ELb0EJPxPiS1_jEEvDpT3_
; %bb.0:
	s_clause 0x1
	s_load_b128 s[4:7], s[0:1], 0x0
	s_load_b64 s[10:11], s[0:1], 0x10
	s_mov_b32 s13, 0
	s_lshl_b32 s12, s15, 11
	v_lshlrev_b32_e32 v19, 3, v0
	s_lshl_b64 s[8:9], s[12:13], 3
	s_mov_b32 s2, s15
	s_delay_alu instid0(VALU_DEP_1)
	v_or_b32_e32 v20, 7, v19
	v_or_b32_e32 v21, 6, v19
	;; [unrolled: 1-line block ×7, first 2 shown]
	v_add_nc_u32_e32 v27, -8, v19
	s_waitcnt lgkmcnt(0)
	s_add_u32 s4, s4, s8
	s_addc_u32 s5, s5, s9
	v_add_co_u32 v5, s3, s4, v19
	s_delay_alu instid0(VALU_DEP_1)
	v_add_co_ci_u32_e64 v6, null, s5, 0, s3
	s_clause 0x1
	global_load_b64 v[3:4], v19, s[4:5]
	global_load_b64 v[1:2], v19, s[4:5] offset:2048
	v_add_co_u32 v7, vcc_lo, 0x1000, v5
	v_add_co_ci_u32_e32 v8, vcc_lo, 0, v6, vcc_lo
	v_add_co_u32 v9, vcc_lo, v5, 0x2000
	v_add_co_ci_u32_e32 v10, vcc_lo, 0, v6, vcc_lo
	;; [unrolled: 2-line block ×4, first 2 shown]
	s_clause 0x5
	global_load_b64 v[5:6], v[9:10], off offset:-4096
	global_load_b64 v[15:16], v[9:10], off
	global_load_b64 v[13:14], v[7:8], off offset:2048
	global_load_b64 v[11:12], v[11:12], off offset:2048
	global_load_b64 v[9:10], v[17:18], off
	global_load_b64 v[7:8], v[17:18], off offset:2048
	s_load_b32 s5, s[0:1], 0x18
	s_mov_b32 s3, s13
	v_cmp_ne_u32_e32 vcc_lo, 0, v0
	s_lshl_b64 s[0:1], s[2:3], 2
	s_delay_alu instid0(SALU_CYCLE_1) | instskip(SKIP_4) | instid1(VALU_DEP_1)
	s_add_u32 s0, s6, s0
	s_addc_u32 s1, s7, s1
	s_waitcnt lgkmcnt(0)
	v_cvt_f32_u32_e32 v17, s5
	s_sub_i32 s3, 0, s5
	v_rcp_iflag_f32_e32 v17, v17
	s_waitcnt_depctr 0xfff
	v_mul_f32_e32 v17, 0x4f7ffffe, v17
	s_delay_alu instid0(VALU_DEP_1) | instskip(NEXT) | instid1(VALU_DEP_1)
	v_cvt_u32_f32_e32 v17, v17
	v_readfirstlane_b32 s2, v17
	s_delay_alu instid0(VALU_DEP_1) | instskip(NEXT) | instid1(SALU_CYCLE_1)
	s_mul_i32 s3, s3, s2
	s_mul_hi_u32 s3, s2, s3
	s_delay_alu instid0(SALU_CYCLE_1) | instskip(NEXT) | instid1(SALU_CYCLE_1)
	s_add_i32 s2, s2, s3
	s_lshr_b32 s2, s2, 21
	s_delay_alu instid0(SALU_CYCLE_1)
	s_mul_i32 s3, s2, s5
	s_add_i32 s6, s2, 1
	s_sub_i32 s4, 0x800, s3
	s_load_b32 s3, s[0:1], 0x0
	s_sub_i32 s7, s4, s5
	s_cmp_ge_u32 s4, s5
	s_cselect_b32 s0, s6, s2
	s_cselect_b32 s1, s7, s4
	s_add_i32 s2, s0, 1
	s_cmp_ge_u32 s1, s5
	s_cselect_b32 s4, s2, s0
	s_max_u32 s5, s5, 1
	s_add_i32 s4, s4, 1
	s_branch .LBB141_2
.LBB141_1:                              ;   in Loop: Header=BB141_2 Depth=1
	s_or_b32 exec_lo, exec_lo, s1
	v_cmp_gt_u32_e64 s0, s3, v20
	v_cmp_gt_u32_e64 s1, s3, v21
	s_add_i32 s5, s5, -1
	s_barrier
	s_delay_alu instid0(VALU_DEP_2)
	v_cndmask_b32_e64 v28, 0, v10, s0
	v_cndmask_b32_e64 v29, 0, v9, s0
	v_cmp_gt_u32_e64 s0, s3, v22
	v_cndmask_b32_e64 v31, 0, v11, s1
	v_cndmask_b32_e64 v30, 0, v12, s1
	buffer_gl0_inv
	v_sub_co_u32 v29, s1, v7, v29
	v_cndmask_b32_e64 v32, 0, v16, s0
	v_cndmask_b32_e64 v33, 0, v15, s0
	v_cmp_gt_u32_e64 s0, s3, v23
	v_sub_co_ci_u32_e64 v28, s1, v8, v28, s1
	v_sub_co_u32 v31, s1, v9, v31
	s_delay_alu instid0(VALU_DEP_3) | instskip(SKIP_2) | instid1(VALU_DEP_1)
	v_cndmask_b32_e64 v34, 0, v14, s0
	v_cndmask_b32_e64 v35, 0, v13, s0
	v_sub_co_u32 v33, s0, v11, v33
	v_sub_co_ci_u32_e64 v32, s0, v12, v32, s0
	v_cmp_gt_u32_e64 s0, s3, v24
	v_sub_co_ci_u32_e64 v30, s1, v10, v30, s1
	v_cmp_gt_u32_e64 s1, s3, v25
	v_sub_co_u32 v35, s2, v15, v35
	s_delay_alu instid0(VALU_DEP_4)
	v_cndmask_b32_e64 v36, 0, v6, s0
	v_cndmask_b32_e64 v37, 0, v5, s0
	v_cmp_gt_u32_e64 s0, s3, v26
	v_cndmask_b32_e64 v39, 0, v1, s1
	v_cndmask_b32_e64 v38, 0, v2, s1
	v_sub_co_ci_u32_e64 v34, s2, v16, v34, s2
	s_delay_alu instid0(VALU_DEP_4) | instskip(SKIP_2) | instid1(VALU_DEP_1)
	v_cndmask_b32_e64 v41, 0, v3, s0
	v_cndmask_b32_e64 v40, 0, v4, s0
	v_sub_co_u32 v39, s0, v5, v39
	v_sub_co_ci_u32_e64 v38, s0, v6, v38, s0
	s_delay_alu instid0(VALU_DEP_4) | instskip(NEXT) | instid1(VALU_DEP_1)
	v_sub_co_u32 v41, s0, v1, v41
	v_sub_co_ci_u32_e64 v40, s0, v2, v40, s0
	v_add_co_u32 v3, s0, v17, v3
	s_delay_alu instid0(VALU_DEP_1) | instskip(NEXT) | instid1(VALU_DEP_4)
	v_add_co_ci_u32_e64 v4, s0, v18, v4, s0
	v_add_co_u32 v1, s0, v41, v1
	v_sub_co_u32 v37, s1, v13, v37
	v_add_co_ci_u32_e64 v2, s0, v40, v2, s0
	v_sub_co_ci_u32_e64 v36, s1, v14, v36, s1
	v_add_co_u32 v5, s0, v39, v5
	s_delay_alu instid0(VALU_DEP_1) | instskip(SKIP_1) | instid1(VALU_DEP_1)
	v_add_co_ci_u32_e64 v6, s0, v38, v6, s0
	v_add_co_u32 v13, s0, v37, v13
	v_add_co_ci_u32_e64 v14, s0, v36, v14, s0
	v_add_co_u32 v15, s0, v35, v15
	s_delay_alu instid0(VALU_DEP_1) | instskip(SKIP_1) | instid1(VALU_DEP_1)
	v_add_co_ci_u32_e64 v16, s0, v34, v16, s0
	v_add_co_u32 v11, s0, v33, v11
	v_add_co_ci_u32_e64 v12, s0, v32, v12, s0
	v_add_co_u32 v9, s0, v31, v9
	s_delay_alu instid0(VALU_DEP_1)
	v_add_co_ci_u32_e64 v10, s0, v30, v10, s0
	v_add_co_u32 v7, s0, v29, v7
	s_add_i32 s1, s4, s3
	v_add_co_ci_u32_e64 v8, s0, v28, v8, s0
	s_and_b32 s3, s1, 0x7ff
	s_cmp_lg_u32 s5, 0
	s_cbranch_scc0 .LBB141_4
.LBB141_2:                              ; =>This Inner Loop Header: Depth=1
	s_waitcnt lgkmcnt(0)
	v_cmp_gt_u32_e64 s0, s3, v19
	s_waitcnt vmcnt(7)
	v_dual_mov_b32 v18, v4 :: v_dual_mov_b32 v17, v3
	s_waitcnt vmcnt(0)
	ds_store_b64 v19, v[7:8]
	s_waitcnt lgkmcnt(0)
	s_and_b32 s0, vcc_lo, s0
	s_barrier
	buffer_gl0_inv
	s_and_saveexec_b32 s1, s0
	s_cbranch_execz .LBB141_1
; %bb.3:                                ;   in Loop: Header=BB141_2 Depth=1
	ds_load_b64 v[17:18], v27
	s_waitcnt lgkmcnt(0)
	v_sub_co_u32 v17, s0, v3, v17
	s_delay_alu instid0(VALU_DEP_1)
	v_sub_co_ci_u32_e64 v18, s0, v4, v18, s0
	s_branch .LBB141_1
.LBB141_4:
	v_lshlrev_b32_e32 v0, 3, v0
	s_add_u32 s0, s10, s8
	s_addc_u32 s1, s11, s9
	s_delay_alu instid0(VALU_DEP_1) | instskip(NEXT) | instid1(VALU_DEP_1)
	v_add_co_u32 v23, s2, s0, v0
	v_add_co_ci_u32_e64 v24, null, s1, 0, s2
	s_delay_alu instid0(VALU_DEP_2) | instskip(NEXT) | instid1(VALU_DEP_2)
	v_add_co_u32 v17, vcc_lo, 0x1000, v23
	v_add_co_ci_u32_e32 v18, vcc_lo, 0, v24, vcc_lo
	v_add_co_u32 v19, vcc_lo, v23, 0x2000
	v_add_co_ci_u32_e32 v20, vcc_lo, 0, v24, vcc_lo
	;; [unrolled: 2-line block ×3, first 2 shown]
	global_store_b64 v[19:20], v[15:16], off
	v_add_co_u32 v15, vcc_lo, 0x3000, v23
	v_add_co_ci_u32_e32 v16, vcc_lo, 0, v24, vcc_lo
	s_clause 0x6
	global_store_b64 v0, v[3:4], s[0:1]
	global_store_b64 v0, v[1:2], s[0:1] offset:2048
	global_store_b64 v[17:18], v[13:14], off offset:2048
	global_store_b64 v[21:22], v[11:12], off offset:2048
	global_store_b64 v[15:16], v[9:10], off
	global_store_b64 v[19:20], v[5:6], off offset:-4096
	global_store_b64 v[15:16], v[7:8], off offset:2048
	s_nop 0
	s_sendmsg sendmsg(MSG_DEALLOC_VGPRS)
	s_endpgm
	.section	.rodata,"a",@progbits
	.p2align	6, 0x0
	.amdhsa_kernel _Z6kernelI26subtract_left_partial_tileLj256ELj8ELb0EJPxPiS1_jEEvDpT3_
		.amdhsa_group_segment_fixed_size 4096
		.amdhsa_private_segment_fixed_size 0
		.amdhsa_kernarg_size 28
		.amdhsa_user_sgpr_count 15
		.amdhsa_user_sgpr_dispatch_ptr 0
		.amdhsa_user_sgpr_queue_ptr 0
		.amdhsa_user_sgpr_kernarg_segment_ptr 1
		.amdhsa_user_sgpr_dispatch_id 0
		.amdhsa_user_sgpr_private_segment_size 0
		.amdhsa_wavefront_size32 1
		.amdhsa_uses_dynamic_stack 0
		.amdhsa_enable_private_segment 0
		.amdhsa_system_sgpr_workgroup_id_x 1
		.amdhsa_system_sgpr_workgroup_id_y 0
		.amdhsa_system_sgpr_workgroup_id_z 0
		.amdhsa_system_sgpr_workgroup_info 0
		.amdhsa_system_vgpr_workitem_id 0
		.amdhsa_next_free_vgpr 42
		.amdhsa_next_free_sgpr 16
		.amdhsa_reserve_vcc 1
		.amdhsa_float_round_mode_32 0
		.amdhsa_float_round_mode_16_64 0
		.amdhsa_float_denorm_mode_32 3
		.amdhsa_float_denorm_mode_16_64 3
		.amdhsa_dx10_clamp 1
		.amdhsa_ieee_mode 1
		.amdhsa_fp16_overflow 0
		.amdhsa_workgroup_processor_mode 1
		.amdhsa_memory_ordered 1
		.amdhsa_forward_progress 0
		.amdhsa_shared_vgpr_count 0
		.amdhsa_exception_fp_ieee_invalid_op 0
		.amdhsa_exception_fp_denorm_src 0
		.amdhsa_exception_fp_ieee_div_zero 0
		.amdhsa_exception_fp_ieee_overflow 0
		.amdhsa_exception_fp_ieee_underflow 0
		.amdhsa_exception_fp_ieee_inexact 0
		.amdhsa_exception_int_div_zero 0
	.end_amdhsa_kernel
	.section	.text._Z6kernelI26subtract_left_partial_tileLj256ELj8ELb0EJPxPiS1_jEEvDpT3_,"axG",@progbits,_Z6kernelI26subtract_left_partial_tileLj256ELj8ELb0EJPxPiS1_jEEvDpT3_,comdat
.Lfunc_end141:
	.size	_Z6kernelI26subtract_left_partial_tileLj256ELj8ELb0EJPxPiS1_jEEvDpT3_, .Lfunc_end141-_Z6kernelI26subtract_left_partial_tileLj256ELj8ELb0EJPxPiS1_jEEvDpT3_
                                        ; -- End function
	.section	.AMDGPU.csdata,"",@progbits
; Kernel info:
; codeLenInByte = 1172
; NumSgprs: 18
; NumVgprs: 42
; ScratchSize: 0
; MemoryBound: 0
; FloatMode: 240
; IeeeMode: 1
; LDSByteSize: 4096 bytes/workgroup (compile time only)
; SGPRBlocks: 2
; VGPRBlocks: 5
; NumSGPRsForWavesPerEU: 18
; NumVGPRsForWavesPerEU: 42
; Occupancy: 16
; WaveLimiterHint : 1
; COMPUTE_PGM_RSRC2:SCRATCH_EN: 0
; COMPUTE_PGM_RSRC2:USER_SGPR: 15
; COMPUTE_PGM_RSRC2:TRAP_HANDLER: 0
; COMPUTE_PGM_RSRC2:TGID_X_EN: 1
; COMPUTE_PGM_RSRC2:TGID_Y_EN: 0
; COMPUTE_PGM_RSRC2:TGID_Z_EN: 0
; COMPUTE_PGM_RSRC2:TIDIG_COMP_CNT: 0
	.section	.text._Z6kernelI26subtract_left_partial_tileLj256ELj16ELb0EJPxPiS1_jEEvDpT3_,"axG",@progbits,_Z6kernelI26subtract_left_partial_tileLj256ELj16ELb0EJPxPiS1_jEEvDpT3_,comdat
	.protected	_Z6kernelI26subtract_left_partial_tileLj256ELj16ELb0EJPxPiS1_jEEvDpT3_ ; -- Begin function _Z6kernelI26subtract_left_partial_tileLj256ELj16ELb0EJPxPiS1_jEEvDpT3_
	.globl	_Z6kernelI26subtract_left_partial_tileLj256ELj16ELb0EJPxPiS1_jEEvDpT3_
	.p2align	8
	.type	_Z6kernelI26subtract_left_partial_tileLj256ELj16ELb0EJPxPiS1_jEEvDpT3_,@function
_Z6kernelI26subtract_left_partial_tileLj256ELj16ELb0EJPxPiS1_jEEvDpT3_: ; @_Z6kernelI26subtract_left_partial_tileLj256ELj16ELb0EJPxPiS1_jEEvDpT3_
; %bb.0:
	s_clause 0x1
	s_load_b128 s[4:7], s[0:1], 0x0
	s_load_b64 s[10:11], s[0:1], 0x10
	s_mov_b32 s13, 0
	s_lshl_b32 s12, s15, 12
	v_lshlrev_b32_e32 v35, 3, v0
	s_lshl_b64 s[8:9], s[12:13], 3
	s_mov_b32 s2, s15
	v_lshlrev_b32_e32 v36, 4, v0
	s_delay_alu instid0(VALU_DEP_2) | instskip(NEXT) | instid1(VALU_DEP_2)
	v_add_nc_u32_e32 v52, -8, v35
	v_or_b32_e32 v37, 15, v36
	v_or_b32_e32 v38, 14, v36
	;; [unrolled: 1-line block ×8, first 2 shown]
	s_waitcnt lgkmcnt(0)
	s_add_u32 s4, s4, s8
	s_addc_u32 s5, s5, s9
	v_add_co_u32 v21, s3, s4, v35
	s_delay_alu instid0(VALU_DEP_1)
	v_add_co_ci_u32_e64 v22, null, s5, 0, s3
	s_clause 0x1
	global_load_b64 v[11:12], v35, s[4:5]
	global_load_b64 v[9:10], v35, s[4:5] offset:2048
	v_add_co_u32 v3, vcc_lo, 0x1000, v21
	v_add_co_ci_u32_e32 v4, vcc_lo, 0, v22, vcc_lo
	v_add_co_u32 v5, vcc_lo, v21, 0x2000
	v_add_co_ci_u32_e32 v6, vcc_lo, 0, v22, vcc_lo
	;; [unrolled: 2-line block ×6, first 2 shown]
	s_clause 0x7
	global_load_b64 v[1:2], v[5:6], off offset:-4096
	global_load_b64 v[27:28], v[5:6], off
	global_load_b64 v[7:8], v[13:14], off offset:-4096
	global_load_b64 v[13:14], v[13:14], off
	global_load_b64 v[31:32], v[3:4], off offset:2048
	global_load_b64 v[29:30], v[15:16], off offset:2048
	;; [unrolled: 1-line block ×4, first 2 shown]
	v_add_co_u32 v15, vcc_lo, 0x5000, v21
	v_add_co_ci_u32_e32 v16, vcc_lo, 0, v22, vcc_lo
	v_add_co_u32 v17, vcc_lo, v21, 0x6000
	v_add_co_ci_u32_e32 v18, vcc_lo, 0, v22, vcc_lo
	;; [unrolled: 2-line block ×4, first 2 shown]
	s_clause 0x5
	global_load_b64 v[25:26], v[17:18], off offset:-4096
	global_load_b64 v[23:24], v[17:18], off
	global_load_b64 v[21:22], v[15:16], off offset:2048
	global_load_b64 v[19:20], v[19:20], off offset:2048
	global_load_b64 v[17:18], v[33:34], off
	global_load_b64 v[15:16], v[33:34], off offset:2048
	s_load_b32 s5, s[0:1], 0x18
	s_mov_b32 s3, s13
	v_or_b32_e32 v45, 7, v36
	s_lshl_b64 s[0:1], s[2:3], 2
	v_or_b32_e32 v46, 6, v36
	s_add_u32 s0, s6, s0
	s_addc_u32 s1, s7, s1
	v_or_b32_e32 v47, 5, v36
	v_or_b32_e32 v48, 4, v36
	;; [unrolled: 1-line block ×5, first 2 shown]
	v_cmp_ne_u32_e32 vcc_lo, 0, v0
	s_waitcnt lgkmcnt(0)
	v_cvt_f32_u32_e32 v33, s5
	s_sub_i32 s3, 0, s5
	s_delay_alu instid0(VALU_DEP_1) | instskip(SKIP_2) | instid1(VALU_DEP_1)
	v_rcp_iflag_f32_e32 v33, v33
	s_waitcnt_depctr 0xfff
	v_mul_f32_e32 v33, 0x4f7ffffe, v33
	v_cvt_u32_f32_e32 v33, v33
	s_delay_alu instid0(VALU_DEP_1) | instskip(NEXT) | instid1(VALU_DEP_1)
	v_readfirstlane_b32 s2, v33
	s_mul_i32 s3, s3, s2
	s_delay_alu instid0(SALU_CYCLE_1) | instskip(NEXT) | instid1(SALU_CYCLE_1)
	s_mul_hi_u32 s3, s2, s3
	s_add_i32 s2, s2, s3
	s_delay_alu instid0(SALU_CYCLE_1) | instskip(NEXT) | instid1(SALU_CYCLE_1)
	s_lshr_b32 s2, s2, 20
	s_mul_i32 s3, s2, s5
	s_add_i32 s4, s2, 1
	s_sub_i32 s3, 0x1000, s3
	s_delay_alu instid0(SALU_CYCLE_1)
	s_sub_i32 s6, s3, s5
	s_cmp_ge_u32 s3, s5
	s_cselect_b32 s2, s4, s2
	s_cselect_b32 s3, s6, s3
	s_add_i32 s4, s2, 1
	s_cmp_ge_u32 s3, s5
	s_load_b32 s3, s[0:1], 0x0
	s_cselect_b32 s4, s4, s2
	s_max_u32 s5, s5, 1
	s_add_i32 s4, s4, 1
	s_branch .LBB142_2
.LBB142_1:                              ;   in Loop: Header=BB142_2 Depth=1
	s_or_b32 exec_lo, exec_lo, s1
	v_cmp_gt_u32_e64 s0, s3, v37
	v_cmp_gt_u32_e64 s1, s3, v38
	s_add_i32 s5, s5, -1
	s_barrier
	s_delay_alu instid0(VALU_DEP_2)
	v_cndmask_b32_e64 v53, 0, v18, s0
	v_cndmask_b32_e64 v54, 0, v17, s0
	v_cmp_gt_u32_e64 s0, s3, v39
	v_cndmask_b32_e64 v56, 0, v19, s1
	v_cndmask_b32_e64 v55, 0, v20, s1
	buffer_gl0_inv
	v_sub_co_u32 v54, s1, v15, v54
	v_cndmask_b32_e64 v57, 0, v24, s0
	v_cndmask_b32_e64 v58, 0, v23, s0
	v_sub_co_u32 v56, s0, v17, v56
	v_sub_co_ci_u32_e64 v53, s1, v16, v53, s1
	v_sub_co_ci_u32_e64 v55, s0, v18, v55, s0
	v_cmp_gt_u32_e64 s0, s3, v40
	v_cmp_gt_u32_e64 s1, s3, v41
	v_sub_co_u32 v58, s2, v19, v58
	s_delay_alu instid0(VALU_DEP_1) | instskip(NEXT) | instid1(VALU_DEP_4)
	v_sub_co_ci_u32_e64 v57, s2, v20, v57, s2
	v_cndmask_b32_e64 v59, 0, v22, s0
	v_cndmask_b32_e64 v60, 0, v21, s0
	v_cndmask_b32_e64 v62, 0, v25, s1
	v_cmp_gt_u32_e64 s0, s3, v42
	v_cndmask_b32_e64 v61, 0, v26, s1
	s_delay_alu instid0(VALU_DEP_4) | instskip(NEXT) | instid1(VALU_DEP_3)
	v_sub_co_u32 v60, s1, v23, v60
	v_cndmask_b32_e64 v63, 0, v4, s0
	v_cndmask_b32_e64 v64, 0, v3, s0
	v_sub_co_u32 v62, s0, v21, v62
	v_sub_co_ci_u32_e64 v59, s1, v24, v59, s1
	v_sub_co_ci_u32_e64 v61, s0, v22, v61, s0
	v_cmp_gt_u32_e64 s0, s3, v43
	v_cmp_gt_u32_e64 s1, s3, v44
	v_sub_co_u32 v64, s2, v25, v64
	s_delay_alu instid0(VALU_DEP_1) | instskip(NEXT) | instid1(VALU_DEP_4)
	v_sub_co_ci_u32_e64 v63, s2, v26, v63, s2
	v_cndmask_b32_e64 v65, 0, v14, s0
	v_cndmask_b32_e64 v66, 0, v13, s0
	v_cndmask_b32_e64 v68, 0, v5, s1
	v_cmp_gt_u32_e64 s0, s3, v45
	v_cndmask_b32_e64 v67, 0, v6, s1
	s_delay_alu instid0(VALU_DEP_4) | instskip(NEXT) | instid1(VALU_DEP_3)
	;; [unrolled: 17-line block ×3, first 2 shown]
	v_sub_co_u32 v72, s1, v7, v72
	v_cndmask_b32_e64 v75, 0, v32, s0
	v_cndmask_b32_e64 v76, 0, v31, s0
	v_sub_co_u32 v74, s0, v29, v74
	s_delay_alu instid0(VALU_DEP_1) | instskip(SKIP_4) | instid1(VALU_DEP_4)
	v_sub_co_ci_u32_e64 v73, s0, v30, v73, s0
	v_cmp_gt_u32_e64 s0, s3, v49
	v_sub_co_ci_u32_e64 v71, s1, v8, v71, s1
	v_cmp_gt_u32_e64 s1, s3, v50
	v_sub_co_u32 v76, s2, v27, v76
	v_cndmask_b32_e64 v77, 0, v2, s0
	v_cndmask_b32_e64 v78, 0, v1, s0
	v_cmp_gt_u32_e64 s0, s3, v51
	v_cndmask_b32_e64 v80, 0, v9, s1
	v_cndmask_b32_e64 v79, 0, v10, s1
	v_sub_co_ci_u32_e64 v75, s2, v28, v75, s2
	s_delay_alu instid0(VALU_DEP_4) | instskip(SKIP_2) | instid1(VALU_DEP_1)
	v_cndmask_b32_e64 v82, 0, v11, s0
	v_cndmask_b32_e64 v81, 0, v12, s0
	v_sub_co_u32 v80, s0, v1, v80
	v_sub_co_ci_u32_e64 v79, s0, v2, v79, s0
	s_delay_alu instid0(VALU_DEP_4) | instskip(NEXT) | instid1(VALU_DEP_1)
	v_sub_co_u32 v82, s0, v9, v82
	v_sub_co_ci_u32_e64 v81, s0, v10, v81, s0
	v_add_co_u32 v11, s0, v33, v11
	s_delay_alu instid0(VALU_DEP_1) | instskip(NEXT) | instid1(VALU_DEP_4)
	v_add_co_ci_u32_e64 v12, s0, v34, v12, s0
	v_add_co_u32 v9, s0, v82, v9
	v_sub_co_u32 v78, s1, v31, v78
	v_add_co_ci_u32_e64 v10, s0, v81, v10, s0
	v_sub_co_ci_u32_e64 v77, s1, v32, v77, s1
	v_add_co_u32 v1, s0, v80, v1
	s_delay_alu instid0(VALU_DEP_1) | instskip(SKIP_1) | instid1(VALU_DEP_1)
	v_add_co_ci_u32_e64 v2, s0, v79, v2, s0
	v_add_co_u32 v31, s0, v78, v31
	v_add_co_ci_u32_e64 v32, s0, v77, v32, s0
	v_add_co_u32 v27, s0, v76, v27
	s_delay_alu instid0(VALU_DEP_1) | instskip(SKIP_1) | instid1(VALU_DEP_1)
	v_add_co_ci_u32_e64 v28, s0, v75, v28, s0
	v_add_co_u32 v29, s0, v74, v29
	v_add_co_ci_u32_e64 v30, s0, v73, v30, s0
	;; [unrolled: 5-line block ×6, first 2 shown]
	v_add_co_u32 v17, s0, v56, v17
	s_delay_alu instid0(VALU_DEP_1)
	v_add_co_ci_u32_e64 v18, s0, v55, v18, s0
	v_add_co_u32 v15, s0, v54, v15
	s_add_i32 s1, s4, s3
	v_add_co_ci_u32_e64 v16, s0, v53, v16, s0
	s_and_b32 s3, s1, 0xfff
	s_cmp_lg_u32 s5, 0
	s_cbranch_scc0 .LBB142_4
.LBB142_2:                              ; =>This Inner Loop Header: Depth=1
	s_waitcnt lgkmcnt(0)
	v_cmp_gt_u32_e64 s0, s3, v36
	s_waitcnt vmcnt(15)
	v_dual_mov_b32 v34, v12 :: v_dual_mov_b32 v33, v11
	s_waitcnt vmcnt(0)
	ds_store_b64 v35, v[15:16]
	s_waitcnt lgkmcnt(0)
	s_and_b32 s0, vcc_lo, s0
	s_barrier
	buffer_gl0_inv
	s_and_saveexec_b32 s1, s0
	s_cbranch_execz .LBB142_1
; %bb.3:                                ;   in Loop: Header=BB142_2 Depth=1
	ds_load_b64 v[33:34], v52
	s_waitcnt lgkmcnt(0)
	v_sub_co_u32 v33, s0, v11, v33
	s_delay_alu instid0(VALU_DEP_1)
	v_sub_co_ci_u32_e64 v34, s0, v12, v34, s0
	s_branch .LBB142_1
.LBB142_4:
	v_lshlrev_b32_e32 v0, 3, v0
	s_add_u32 s0, s10, s8
	s_addc_u32 s1, s11, s9
	s_delay_alu instid0(VALU_DEP_1) | instskip(NEXT) | instid1(VALU_DEP_1)
	v_add_co_u32 v39, s2, s0, v0
	v_add_co_ci_u32_e64 v40, null, s1, 0, s2
	s_delay_alu instid0(VALU_DEP_2) | instskip(NEXT) | instid1(VALU_DEP_2)
	v_add_co_u32 v33, vcc_lo, 0x1000, v39
	v_add_co_ci_u32_e32 v34, vcc_lo, 0, v40, vcc_lo
	v_add_co_u32 v35, vcc_lo, v39, 0x2000
	v_add_co_ci_u32_e32 v36, vcc_lo, 0, v40, vcc_lo
	;; [unrolled: 2-line block ×3, first 2 shown]
	s_clause 0x4
	global_store_b64 v[35:36], v[27:28], off
	global_store_b64 v0, v[11:12], s[0:1]
	global_store_b64 v0, v[9:10], s[0:1] offset:2048
	global_store_b64 v[33:34], v[31:32], off offset:2048
	global_store_b64 v[37:38], v[29:30], off offset:2048
	v_add_co_u32 v9, vcc_lo, 0x3000, v39
	v_add_co_ci_u32_e32 v10, vcc_lo, 0, v40, vcc_lo
	v_add_co_u32 v11, vcc_lo, v39, 0x4000
	v_add_co_ci_u32_e32 v12, vcc_lo, 0, v40, vcc_lo
	;; [unrolled: 2-line block ×6, first 2 shown]
	s_clause 0x3
	global_store_b64 v[11:12], v[7:8], off offset:-4096
	global_store_b64 v[11:12], v[13:14], off
	global_store_b64 v[31:32], v[25:26], off offset:-4096
	global_store_b64 v[31:32], v[23:24], off
	v_add_co_u32 v7, vcc_lo, 0x7000, v39
	v_add_co_ci_u32_e32 v8, vcc_lo, 0, v40, vcc_lo
	s_clause 0x6
	global_store_b64 v[9:10], v[5:6], off offset:2048
	global_store_b64 v[27:28], v[3:4], off offset:2048
	;; [unrolled: 1-line block ×4, first 2 shown]
	global_store_b64 v[7:8], v[17:18], off
	global_store_b64 v[35:36], v[1:2], off offset:-4096
	global_store_b64 v[7:8], v[15:16], off offset:2048
	s_nop 0
	s_sendmsg sendmsg(MSG_DEALLOC_VGPRS)
	s_endpgm
	.section	.rodata,"a",@progbits
	.p2align	6, 0x0
	.amdhsa_kernel _Z6kernelI26subtract_left_partial_tileLj256ELj16ELb0EJPxPiS1_jEEvDpT3_
		.amdhsa_group_segment_fixed_size 4096
		.amdhsa_private_segment_fixed_size 0
		.amdhsa_kernarg_size 28
		.amdhsa_user_sgpr_count 15
		.amdhsa_user_sgpr_dispatch_ptr 0
		.amdhsa_user_sgpr_queue_ptr 0
		.amdhsa_user_sgpr_kernarg_segment_ptr 1
		.amdhsa_user_sgpr_dispatch_id 0
		.amdhsa_user_sgpr_private_segment_size 0
		.amdhsa_wavefront_size32 1
		.amdhsa_uses_dynamic_stack 0
		.amdhsa_enable_private_segment 0
		.amdhsa_system_sgpr_workgroup_id_x 1
		.amdhsa_system_sgpr_workgroup_id_y 0
		.amdhsa_system_sgpr_workgroup_id_z 0
		.amdhsa_system_sgpr_workgroup_info 0
		.amdhsa_system_vgpr_workitem_id 0
		.amdhsa_next_free_vgpr 83
		.amdhsa_next_free_sgpr 16
		.amdhsa_reserve_vcc 1
		.amdhsa_float_round_mode_32 0
		.amdhsa_float_round_mode_16_64 0
		.amdhsa_float_denorm_mode_32 3
		.amdhsa_float_denorm_mode_16_64 3
		.amdhsa_dx10_clamp 1
		.amdhsa_ieee_mode 1
		.amdhsa_fp16_overflow 0
		.amdhsa_workgroup_processor_mode 1
		.amdhsa_memory_ordered 1
		.amdhsa_forward_progress 0
		.amdhsa_shared_vgpr_count 0
		.amdhsa_exception_fp_ieee_invalid_op 0
		.amdhsa_exception_fp_denorm_src 0
		.amdhsa_exception_fp_ieee_div_zero 0
		.amdhsa_exception_fp_ieee_overflow 0
		.amdhsa_exception_fp_ieee_underflow 0
		.amdhsa_exception_fp_ieee_inexact 0
		.amdhsa_exception_int_div_zero 0
	.end_amdhsa_kernel
	.section	.text._Z6kernelI26subtract_left_partial_tileLj256ELj16ELb0EJPxPiS1_jEEvDpT3_,"axG",@progbits,_Z6kernelI26subtract_left_partial_tileLj256ELj16ELb0EJPxPiS1_jEEvDpT3_,comdat
.Lfunc_end142:
	.size	_Z6kernelI26subtract_left_partial_tileLj256ELj16ELb0EJPxPiS1_jEEvDpT3_, .Lfunc_end142-_Z6kernelI26subtract_left_partial_tileLj256ELj16ELb0EJPxPiS1_jEEvDpT3_
                                        ; -- End function
	.section	.AMDGPU.csdata,"",@progbits
; Kernel info:
; codeLenInByte = 2024
; NumSgprs: 18
; NumVgprs: 83
; ScratchSize: 0
; MemoryBound: 0
; FloatMode: 240
; IeeeMode: 1
; LDSByteSize: 4096 bytes/workgroup (compile time only)
; SGPRBlocks: 2
; VGPRBlocks: 10
; NumSGPRsForWavesPerEU: 18
; NumVGPRsForWavesPerEU: 83
; Occupancy: 16
; WaveLimiterHint : 1
; COMPUTE_PGM_RSRC2:SCRATCH_EN: 0
; COMPUTE_PGM_RSRC2:USER_SGPR: 15
; COMPUTE_PGM_RSRC2:TRAP_HANDLER: 0
; COMPUTE_PGM_RSRC2:TGID_X_EN: 1
; COMPUTE_PGM_RSRC2:TGID_Y_EN: 0
; COMPUTE_PGM_RSRC2:TGID_Z_EN: 0
; COMPUTE_PGM_RSRC2:TIDIG_COMP_CNT: 0
	.section	.text._Z6kernelI26subtract_left_partial_tileLj256ELj32ELb0EJPxPiS1_jEEvDpT3_,"axG",@progbits,_Z6kernelI26subtract_left_partial_tileLj256ELj32ELb0EJPxPiS1_jEEvDpT3_,comdat
	.protected	_Z6kernelI26subtract_left_partial_tileLj256ELj32ELb0EJPxPiS1_jEEvDpT3_ ; -- Begin function _Z6kernelI26subtract_left_partial_tileLj256ELj32ELb0EJPxPiS1_jEEvDpT3_
	.globl	_Z6kernelI26subtract_left_partial_tileLj256ELj32ELb0EJPxPiS1_jEEvDpT3_
	.p2align	8
	.type	_Z6kernelI26subtract_left_partial_tileLj256ELj32ELb0EJPxPiS1_jEEvDpT3_,@function
_Z6kernelI26subtract_left_partial_tileLj256ELj32ELb0EJPxPiS1_jEEvDpT3_: ; @_Z6kernelI26subtract_left_partial_tileLj256ELj32ELb0EJPxPiS1_jEEvDpT3_
; %bb.0:
	s_clause 0x1
	s_load_b128 s[4:7], s[0:1], 0x0
	s_load_b64 s[10:11], s[0:1], 0x10
	s_mov_b32 s13, 0
	s_lshl_b32 s12, s15, 13
	v_lshlrev_b32_e32 v67, 3, v0
	s_lshl_b64 s[8:9], s[12:13], 3
	s_mov_b32 s2, s15
	v_lshlrev_b32_e32 v68, 5, v0
	s_delay_alu instid0(VALU_DEP_2) | instskip(NEXT) | instid1(VALU_DEP_2)
	v_add_nc_u32_e32 v100, -8, v67
	v_or_b32_e32 v69, 31, v68
	v_or_b32_e32 v70, 30, v68
	;; [unrolled: 1-line block ×8, first 2 shown]
	s_waitcnt lgkmcnt(0)
	s_add_u32 s4, s4, s8
	s_addc_u32 s5, s5, s9
	v_add_co_u32 v49, s3, s4, v67
	s_delay_alu instid0(VALU_DEP_1) | instskip(SKIP_1) | instid1(VALU_DEP_2)
	v_add_co_ci_u32_e64 v50, null, s5, 0, s3
	s_mov_b32 s3, s13
	v_add_co_u32 v3, vcc_lo, 0x1000, v49
	s_delay_alu instid0(VALU_DEP_2)
	v_add_co_ci_u32_e32 v4, vcc_lo, 0, v50, vcc_lo
	v_add_co_u32 v5, vcc_lo, v49, 0x2000
	v_add_co_ci_u32_e32 v6, vcc_lo, 0, v50, vcc_lo
	v_add_co_u32 v7, vcc_lo, 0x2000, v49
	v_add_co_ci_u32_e32 v8, vcc_lo, 0, v50, vcc_lo
	v_add_co_u32 v9, vcc_lo, 0x3000, v49
	v_add_co_ci_u32_e32 v10, vcc_lo, 0, v50, vcc_lo
	v_add_co_u32 v11, vcc_lo, v49, 0x4000
	v_add_co_ci_u32_e32 v12, vcc_lo, 0, v50, vcc_lo
	v_add_co_u32 v15, vcc_lo, 0x4000, v49
	v_add_co_ci_u32_e32 v16, vcc_lo, 0, v50, vcc_lo
	s_clause 0x7
	global_load_b64 v[1:2], v[5:6], off offset:-4096
	global_load_b64 v[21:22], v[5:6], off
	global_load_b64 v[13:14], v[11:12], off offset:-4096
	global_load_b64 v[17:18], v[11:12], off
	global_load_b64 v[31:32], v[3:4], off offset:2048
	global_load_b64 v[29:30], v[7:8], off offset:2048
	global_load_b64 v[11:12], v[9:10], off offset:2048
	global_load_b64 v[9:10], v[15:16], off offset:2048
	v_add_co_u32 v3, vcc_lo, 0x5000, v49
	v_add_co_ci_u32_e32 v4, vcc_lo, 0, v50, vcc_lo
	v_add_co_u32 v5, vcc_lo, v49, 0x6000
	v_add_co_ci_u32_e32 v6, vcc_lo, 0, v50, vcc_lo
	v_add_co_u32 v23, vcc_lo, 0x6000, v49
	v_add_co_ci_u32_e32 v24, vcc_lo, 0, v50, vcc_lo
	v_add_co_u32 v33, vcc_lo, 0x7000, v49
	v_add_co_ci_u32_e32 v34, vcc_lo, 0, v50, vcc_lo
	v_add_co_u32 v15, vcc_lo, v49, 0x8000
	v_add_co_ci_u32_e32 v16, vcc_lo, 0, v50, vcc_lo
	v_add_co_u32 v35, vcc_lo, 0x8000, v49
	v_add_co_ci_u32_e32 v36, vcc_lo, 0, v50, vcc_lo
	s_clause 0x7
	global_load_b64 v[27:28], v[5:6], off offset:-4096
	global_load_b64 v[19:20], v[5:6], off
	global_load_b64 v[7:8], v[15:16], off offset:-4096
	global_load_b64 v[15:16], v[15:16], off
	global_load_b64 v[25:26], v[3:4], off offset:2048
	global_load_b64 v[23:24], v[23:24], off offset:2048
	global_load_b64 v[5:6], v[33:34], off offset:2048
	global_load_b64 v[3:4], v[35:36], off offset:2048
	v_add_co_u32 v33, vcc_lo, 0x9000, v49
	v_add_co_ci_u32_e32 v34, vcc_lo, 0, v50, vcc_lo
	v_add_co_u32 v35, vcc_lo, v49, 0xa000
	v_add_co_ci_u32_e32 v36, vcc_lo, 0, v50, vcc_lo
	v_add_co_u32 v41, vcc_lo, 0xa000, v49
	v_add_co_ci_u32_e32 v42, vcc_lo, 0, v50, vcc_lo
	v_add_co_u32 v43, vcc_lo, 0xb000, v49
	v_add_co_ci_u32_e32 v44, vcc_lo, 0, v50, vcc_lo
	v_add_co_u32 v37, vcc_lo, v49, 0xc000
	v_add_co_ci_u32_e32 v38, vcc_lo, 0, v50, vcc_lo
	v_add_co_u32 v45, vcc_lo, 0xc000, v49
	v_add_co_ci_u32_e32 v46, vcc_lo, 0, v50, vcc_lo
	s_clause 0x7
	global_load_b64 v[59:60], v[35:36], off offset:-4096
	global_load_b64 v[53:54], v[35:36], off
	global_load_b64 v[39:40], v[37:38], off offset:-4096
	global_load_b64 v[37:38], v[37:38], off
	global_load_b64 v[57:58], v[33:34], off offset:2048
	global_load_b64 v[55:56], v[41:42], off offset:2048
	global_load_b64 v[35:36], v[43:44], off offset:2048
	global_load_b64 v[33:34], v[45:46], off offset:2048
	v_add_co_u32 v41, vcc_lo, 0xd000, v49
	v_add_co_ci_u32_e32 v42, vcc_lo, 0, v50, vcc_lo
	v_add_co_u32 v43, vcc_lo, v49, 0xe000
	v_add_co_ci_u32_e32 v44, vcc_lo, 0, v50, vcc_lo
	v_add_co_u32 v47, vcc_lo, 0xe000, v49
	;; [unrolled: 2-line block ×3, first 2 shown]
	v_add_co_ci_u32_e32 v62, vcc_lo, 0, v50, vcc_lo
	s_clause 0x7
	global_load_b64 v[51:52], v[43:44], off offset:-4096
	global_load_b64 v[45:46], v[43:44], off
	global_load_b64 v[49:50], v[41:42], off offset:2048
	global_load_b64 v[47:48], v[47:48], off offset:2048
	global_load_b64 v[43:44], v[61:62], off
	global_load_b64 v[41:42], v[61:62], off offset:2048
	global_load_b64 v[63:64], v67, s[4:5]
	global_load_b64 v[61:62], v67, s[4:5] offset:2048
	s_load_b32 s5, s[0:1], 0x18
	s_lshl_b64 s[0:1], s[2:3], 2
	v_or_b32_e32 v77, 23, v68
	s_add_u32 s0, s6, s0
	s_addc_u32 s1, s7, s1
	v_or_b32_e32 v78, 22, v68
	v_or_b32_e32 v79, 21, v68
	;; [unrolled: 1-line block ×15, first 2 shown]
	s_waitcnt lgkmcnt(0)
	v_cvt_f32_u32_e32 v65, s5
	s_sub_i32 s3, 0, s5
	v_or_b32_e32 v93, 7, v68
	v_or_b32_e32 v94, 6, v68
	;; [unrolled: 1-line block ×3, first 2 shown]
	v_rcp_iflag_f32_e32 v65, v65
	v_or_b32_e32 v96, 4, v68
	v_or_b32_e32 v97, 3, v68
	v_cmp_ne_u32_e32 vcc_lo, 0, v0
	v_or_b32_e32 v98, 2, v68
	v_or_b32_e32 v99, 1, v68
	s_waitcnt_depctr 0xfff
	v_mul_f32_e32 v65, 0x4f7ffffe, v65
	s_delay_alu instid0(VALU_DEP_1) | instskip(NEXT) | instid1(VALU_DEP_1)
	v_cvt_u32_f32_e32 v65, v65
	v_readfirstlane_b32 s2, v65
	s_delay_alu instid0(VALU_DEP_1) | instskip(NEXT) | instid1(SALU_CYCLE_1)
	s_mul_i32 s3, s3, s2
	s_mul_hi_u32 s3, s2, s3
	s_delay_alu instid0(SALU_CYCLE_1) | instskip(NEXT) | instid1(SALU_CYCLE_1)
	s_add_i32 s2, s2, s3
	s_lshr_b32 s2, s2, 19
	s_delay_alu instid0(SALU_CYCLE_1) | instskip(SKIP_2) | instid1(SALU_CYCLE_1)
	s_mul_i32 s3, s2, s5
	s_add_i32 s4, s2, 1
	s_sub_i32 s3, 0x2000, s3
	s_sub_i32 s6, s3, s5
	s_cmp_ge_u32 s3, s5
	s_cselect_b32 s2, s4, s2
	s_cselect_b32 s3, s6, s3
	s_add_i32 s4, s2, 1
	s_cmp_ge_u32 s3, s5
	s_load_b32 s3, s[0:1], 0x0
	s_cselect_b32 s4, s4, s2
	s_max_u32 s5, s5, 1
	s_add_i32 s4, s4, 1
	s_branch .LBB143_2
.LBB143_1:                              ;   in Loop: Header=BB143_2 Depth=1
	s_or_b32 exec_lo, exec_lo, s1
	v_cmp_gt_u32_e64 s0, s3, v69
	v_cmp_gt_u32_e64 s1, s3, v70
	;; [unrolled: 1-line block ×3, first 2 shown]
	s_add_i32 s5, s5, -1
	s_delay_alu instid0(VALU_DEP_3)
	v_cndmask_b32_e64 v101, 0, v43, s0
	v_cndmask_b32_e64 v102, 0, v44, s0
	;; [unrolled: 1-line block ×5, first 2 shown]
	v_sub_co_u32 v101, s0, v41, v101
	s_delay_alu instid0(VALU_DEP_1) | instskip(SKIP_2) | instid1(VALU_DEP_1)
	v_sub_co_ci_u32_e64 v102, s0, v42, v102, s0
	v_cmp_gt_u32_e64 s0, s3, v72
	v_sub_co_u32 v105, s1, v43, v105
	v_sub_co_ci_u32_e64 v103, s1, v44, v103, s1
	v_cmp_gt_u32_e64 s1, s3, v99
	v_cndmask_b32_e64 v104, 0, v46, s2
	v_cndmask_b32_e64 v108, 0, v49, s0
	;; [unrolled: 1-line block ×3, first 2 shown]
	v_sub_co_u32 v106, s0, v47, v106
	v_cndmask_b32_e64 v112, 0, v63, s1
	v_sub_co_ci_u32_e64 v104, s0, v48, v104, s0
	v_sub_co_u32 v108, s2, v45, v108
	v_cndmask_b32_e64 v111, 0, v64, s1
	v_cmp_gt_u32_e64 s0, s3, v73
	v_sub_co_ci_u32_e64 v107, s2, v46, v107, s2
	v_cmp_gt_u32_e64 s1, s3, v98
	v_sub_co_u32 v112, s2, v61, v112
	s_delay_alu instid0(VALU_DEP_1) | instskip(SKIP_3) | instid1(VALU_DEP_1)
	v_sub_co_ci_u32_e64 v111, s2, v62, v111, s2
	v_cndmask_b32_e64 v109, 0, v52, s0
	v_cndmask_b32_e64 v110, 0, v51, s0
	v_add_co_u32 v63, s0, v65, v63
	v_add_co_ci_u32_e64 v64, s0, v66, v64, s0
	v_cndmask_b32_e64 v66, 0, v61, s1
	v_cndmask_b32_e64 v113, 0, v62, s1
	v_add_co_u32 v61, s1, v112, v61
	s_delay_alu instid0(VALU_DEP_1) | instskip(SKIP_2) | instid1(VALU_DEP_1)
	v_add_co_ci_u32_e64 v62, s1, v111, v62, s1
	v_cmp_gt_u32_e64 s1, s3, v97
	v_sub_co_u32 v66, s2, v1, v66
	v_sub_co_ci_u32_e64 v112, s2, v2, v113, s2
	s_delay_alu instid0(VALU_DEP_3) | instskip(SKIP_1) | instid1(VALU_DEP_4)
	v_cndmask_b32_e64 v111, 0, v1, s1
	v_cndmask_b32_e64 v113, 0, v2, s1
	v_add_co_u32 v1, s1, v66, v1
	s_delay_alu instid0(VALU_DEP_1) | instskip(SKIP_2) | instid1(VALU_DEP_1)
	v_add_co_ci_u32_e64 v2, s1, v112, v2, s1
	v_cmp_gt_u32_e64 s1, s3, v96
	v_sub_co_u32 v111, s2, v31, v111
	v_sub_co_ci_u32_e64 v112, s2, v32, v113, s2
	s_delay_alu instid0(VALU_DEP_3) | instskip(SKIP_1) | instid1(VALU_DEP_4)
	;; [unrolled: 9-line block ×22, first 2 shown]
	v_cndmask_b32_e64 v66, 0, v35, s1
	v_cndmask_b32_e64 v113, 0, v36, s1
	v_add_co_u32 v35, s1, v111, v35
	s_delay_alu instid0(VALU_DEP_1) | instskip(SKIP_3) | instid1(VALU_DEP_1)
	v_add_co_ci_u32_e64 v36, s1, v112, v36, s1
	v_cmp_gt_u32_e64 s1, s3, v75
	v_cmp_gt_u32_e64 s0, s3, v74
	v_sub_co_u32 v66, s2, v37, v66
	v_sub_co_ci_u32_e64 v112, s2, v38, v113, s2
	s_delay_alu instid0(VALU_DEP_4) | instskip(NEXT) | instid1(VALU_DEP_4)
	v_cndmask_b32_e64 v111, 0, v37, s1
	v_cndmask_b32_e64 v65, 0, v34, s0
	;; [unrolled: 1-line block ×3, first 2 shown]
	v_add_co_u32 v37, s1, v66, v37
	v_cndmask_b32_e64 v66, 0, v33, s0
	v_sub_co_u32 v110, s0, v49, v110
	s_delay_alu instid0(VALU_DEP_1) | instskip(SKIP_4) | instid1(VALU_DEP_1)
	v_sub_co_ci_u32_e64 v109, s0, v50, v109, s0
	v_sub_co_u32 v111, s0, v33, v111
	v_add_co_ci_u32_e64 v38, s1, v112, v38, s1
	v_sub_co_ci_u32_e64 v112, s0, v34, v113, s0
	v_sub_co_u32 v66, s0, v51, v66
	v_sub_co_ci_u32_e64 v65, s0, v52, v65, s0
	v_add_co_u32 v33, s0, v111, v33
	s_delay_alu instid0(VALU_DEP_1) | instskip(NEXT) | instid1(VALU_DEP_4)
	v_add_co_ci_u32_e64 v34, s0, v112, v34, s0
	v_add_co_u32 v51, s0, v66, v51
	s_delay_alu instid0(VALU_DEP_1) | instskip(SKIP_1) | instid1(VALU_DEP_1)
	v_add_co_ci_u32_e64 v52, s0, v65, v52, s0
	v_add_co_u32 v49, s0, v110, v49
	v_add_co_ci_u32_e64 v50, s0, v109, v50, s0
	v_add_co_u32 v45, s0, v108, v45
	s_delay_alu instid0(VALU_DEP_1) | instskip(SKIP_1) | instid1(VALU_DEP_1)
	v_add_co_ci_u32_e64 v46, s0, v107, v46, s0
	v_add_co_u32 v47, s0, v106, v47
	v_add_co_ci_u32_e64 v48, s0, v104, v48, s0
	v_add_co_u32 v43, s0, v105, v43
	s_delay_alu instid0(VALU_DEP_1)
	v_add_co_ci_u32_e64 v44, s0, v103, v44, s0
	v_add_co_u32 v41, s0, v101, v41
	s_add_i32 s1, s4, s3
	v_add_co_ci_u32_e64 v42, s0, v102, v42, s0
	s_and_b32 s3, s1, 0x1fff
	s_cmp_lg_u32 s5, 0
	s_barrier
	buffer_gl0_inv
	s_cbranch_scc0 .LBB143_4
.LBB143_2:                              ; =>This Inner Loop Header: Depth=1
	s_waitcnt lgkmcnt(0)
	v_cmp_gt_u32_e64 s0, s3, v68
	s_waitcnt vmcnt(1)
	v_dual_mov_b32 v66, v64 :: v_dual_mov_b32 v65, v63
	ds_store_b64 v67, v[41:42]
	s_waitcnt vmcnt(0) lgkmcnt(0)
	s_and_b32 s0, vcc_lo, s0
	s_barrier
	buffer_gl0_inv
	s_and_saveexec_b32 s1, s0
	s_cbranch_execz .LBB143_1
; %bb.3:                                ;   in Loop: Header=BB143_2 Depth=1
	ds_load_b64 v[65:66], v100
	s_waitcnt lgkmcnt(0)
	v_sub_co_u32 v65, s0, v63, v65
	s_delay_alu instid0(VALU_DEP_1)
	v_sub_co_ci_u32_e64 v66, s0, v64, v66, s0
	s_branch .LBB143_1
.LBB143_4:
	v_lshlrev_b32_e32 v0, 3, v0
	s_add_u32 s0, s10, s8
	s_addc_u32 s1, s11, s9
	s_delay_alu instid0(VALU_DEP_1) | instskip(NEXT) | instid1(VALU_DEP_1)
	v_add_co_u32 v71, s2, s0, v0
	v_add_co_ci_u32_e64 v72, null, s1, 0, s2
	s_delay_alu instid0(VALU_DEP_2) | instskip(NEXT) | instid1(VALU_DEP_2)
	v_add_co_u32 v65, vcc_lo, 0x1000, v71
	v_add_co_ci_u32_e32 v66, vcc_lo, 0, v72, vcc_lo
	v_add_co_u32 v67, vcc_lo, v71, 0x2000
	v_add_co_ci_u32_e32 v68, vcc_lo, 0, v72, vcc_lo
	;; [unrolled: 2-line block ×3, first 2 shown]
	s_clause 0x4
	global_store_b64 v[67:68], v[21:22], off
	global_store_b64 v0, v[63:64], s[0:1]
	global_store_b64 v0, v[61:62], s[0:1] offset:2048
	global_store_b64 v[65:66], v[31:32], off offset:2048
	global_store_b64 v[69:70], v[29:30], off offset:2048
	v_add_co_u32 v21, vcc_lo, 0x3000, v71
	v_add_co_ci_u32_e32 v22, vcc_lo, 0, v72, vcc_lo
	v_add_co_u32 v29, vcc_lo, v71, 0x4000
	v_add_co_ci_u32_e32 v30, vcc_lo, 0, v72, vcc_lo
	;; [unrolled: 2-line block ×6, first 2 shown]
	s_clause 0x7
	global_store_b64 v[29:30], v[13:14], off offset:-4096
	global_store_b64 v[29:30], v[17:18], off
	global_store_b64 v[63:64], v[27:28], off offset:-4096
	global_store_b64 v[63:64], v[19:20], off
	global_store_b64 v[21:22], v[11:12], off offset:2048
	global_store_b64 v[31:32], v[9:10], off offset:2048
	;; [unrolled: 1-line block ×4, first 2 shown]
	v_add_co_u32 v9, vcc_lo, 0x7000, v71
	v_add_co_ci_u32_e32 v10, vcc_lo, 0, v72, vcc_lo
	v_add_co_u32 v11, vcc_lo, v71, 0x8000
	v_add_co_ci_u32_e32 v12, vcc_lo, 0, v72, vcc_lo
	;; [unrolled: 2-line block ×6, first 2 shown]
	s_clause 0x7
	global_store_b64 v[11:12], v[7:8], off offset:-4096
	global_store_b64 v[11:12], v[15:16], off
	global_store_b64 v[19:20], v[59:60], off offset:-4096
	global_store_b64 v[19:20], v[53:54], off
	global_store_b64 v[9:10], v[5:6], off offset:2048
	global_store_b64 v[13:14], v[3:4], off offset:2048
	;; [unrolled: 1-line block ×4, first 2 shown]
	v_add_co_u32 v3, vcc_lo, 0xb000, v71
	v_add_co_ci_u32_e32 v4, vcc_lo, 0, v72, vcc_lo
	v_add_co_u32 v5, vcc_lo, v71, 0xc000
	v_add_co_ci_u32_e32 v6, vcc_lo, 0, v72, vcc_lo
	;; [unrolled: 2-line block ×6, first 2 shown]
	s_clause 0x3
	global_store_b64 v[5:6], v[39:40], off offset:-4096
	global_store_b64 v[5:6], v[37:38], off
	global_store_b64 v[11:12], v[51:52], off offset:-4096
	global_store_b64 v[11:12], v[45:46], off
	v_add_co_u32 v5, vcc_lo, 0xf000, v71
	v_add_co_ci_u32_e32 v6, vcc_lo, 0, v72, vcc_lo
	s_clause 0x6
	global_store_b64 v[3:4], v[35:36], off offset:2048
	global_store_b64 v[7:8], v[33:34], off offset:2048
	global_store_b64 v[9:10], v[49:50], off offset:2048
	global_store_b64 v[13:14], v[47:48], off offset:2048
	global_store_b64 v[5:6], v[43:44], off
	global_store_b64 v[67:68], v[1:2], off offset:-4096
	global_store_b64 v[5:6], v[41:42], off offset:2048
	s_nop 0
	s_sendmsg sendmsg(MSG_DEALLOC_VGPRS)
	s_endpgm
	.section	.rodata,"a",@progbits
	.p2align	6, 0x0
	.amdhsa_kernel _Z6kernelI26subtract_left_partial_tileLj256ELj32ELb0EJPxPiS1_jEEvDpT3_
		.amdhsa_group_segment_fixed_size 4096
		.amdhsa_private_segment_fixed_size 0
		.amdhsa_kernarg_size 28
		.amdhsa_user_sgpr_count 15
		.amdhsa_user_sgpr_dispatch_ptr 0
		.amdhsa_user_sgpr_queue_ptr 0
		.amdhsa_user_sgpr_kernarg_segment_ptr 1
		.amdhsa_user_sgpr_dispatch_id 0
		.amdhsa_user_sgpr_private_segment_size 0
		.amdhsa_wavefront_size32 1
		.amdhsa_uses_dynamic_stack 0
		.amdhsa_enable_private_segment 0
		.amdhsa_system_sgpr_workgroup_id_x 1
		.amdhsa_system_sgpr_workgroup_id_y 0
		.amdhsa_system_sgpr_workgroup_id_z 0
		.amdhsa_system_sgpr_workgroup_info 0
		.amdhsa_system_vgpr_workitem_id 0
		.amdhsa_next_free_vgpr 114
		.amdhsa_next_free_sgpr 16
		.amdhsa_reserve_vcc 1
		.amdhsa_float_round_mode_32 0
		.amdhsa_float_round_mode_16_64 0
		.amdhsa_float_denorm_mode_32 3
		.amdhsa_float_denorm_mode_16_64 3
		.amdhsa_dx10_clamp 1
		.amdhsa_ieee_mode 1
		.amdhsa_fp16_overflow 0
		.amdhsa_workgroup_processor_mode 1
		.amdhsa_memory_ordered 1
		.amdhsa_forward_progress 0
		.amdhsa_shared_vgpr_count 0
		.amdhsa_exception_fp_ieee_invalid_op 0
		.amdhsa_exception_fp_denorm_src 0
		.amdhsa_exception_fp_ieee_div_zero 0
		.amdhsa_exception_fp_ieee_overflow 0
		.amdhsa_exception_fp_ieee_underflow 0
		.amdhsa_exception_fp_ieee_inexact 0
		.amdhsa_exception_int_div_zero 0
	.end_amdhsa_kernel
	.section	.text._Z6kernelI26subtract_left_partial_tileLj256ELj32ELb0EJPxPiS1_jEEvDpT3_,"axG",@progbits,_Z6kernelI26subtract_left_partial_tileLj256ELj32ELb0EJPxPiS1_jEEvDpT3_,comdat
.Lfunc_end143:
	.size	_Z6kernelI26subtract_left_partial_tileLj256ELj32ELb0EJPxPiS1_jEEvDpT3_, .Lfunc_end143-_Z6kernelI26subtract_left_partial_tileLj256ELj32ELb0EJPxPiS1_jEEvDpT3_
                                        ; -- End function
	.section	.AMDGPU.csdata,"",@progbits
; Kernel info:
; codeLenInByte = 3776
; NumSgprs: 18
; NumVgprs: 114
; ScratchSize: 0
; MemoryBound: 0
; FloatMode: 240
; IeeeMode: 1
; LDSByteSize: 4096 bytes/workgroup (compile time only)
; SGPRBlocks: 2
; VGPRBlocks: 14
; NumSGPRsForWavesPerEU: 18
; NumVGPRsForWavesPerEU: 114
; Occupancy: 12
; WaveLimiterHint : 1
; COMPUTE_PGM_RSRC2:SCRATCH_EN: 0
; COMPUTE_PGM_RSRC2:USER_SGPR: 15
; COMPUTE_PGM_RSRC2:TRAP_HANDLER: 0
; COMPUTE_PGM_RSRC2:TGID_X_EN: 1
; COMPUTE_PGM_RSRC2:TGID_Y_EN: 0
; COMPUTE_PGM_RSRC2:TGID_Z_EN: 0
; COMPUTE_PGM_RSRC2:TIDIG_COMP_CNT: 0
	.section	.text._Z6kernelI26subtract_left_partial_tileLj256ELj1ELb0EJPdPiS1_jEEvDpT3_,"axG",@progbits,_Z6kernelI26subtract_left_partial_tileLj256ELj1ELb0EJPdPiS1_jEEvDpT3_,comdat
	.protected	_Z6kernelI26subtract_left_partial_tileLj256ELj1ELb0EJPdPiS1_jEEvDpT3_ ; -- Begin function _Z6kernelI26subtract_left_partial_tileLj256ELj1ELb0EJPdPiS1_jEEvDpT3_
	.globl	_Z6kernelI26subtract_left_partial_tileLj256ELj1ELb0EJPdPiS1_jEEvDpT3_
	.p2align	8
	.type	_Z6kernelI26subtract_left_partial_tileLj256ELj1ELb0EJPdPiS1_jEEvDpT3_,@function
_Z6kernelI26subtract_left_partial_tileLj256ELj1ELb0EJPdPiS1_jEEvDpT3_: ; @_Z6kernelI26subtract_left_partial_tileLj256ELj1ELb0EJPdPiS1_jEEvDpT3_
; %bb.0:
	s_clause 0x1
	s_load_b128 s[8:11], s[0:1], 0x0
	s_load_b64 s[4:5], s[0:1], 0x10
	s_lshl_b32 s12, s15, 8
	s_mov_b32 s13, 0
	v_lshlrev_b32_e32 v5, 3, v0
	s_lshl_b64 s[2:3], s[12:13], 3
	s_mov_b32 s6, s15
	s_mov_b32 s7, s13
	v_cmp_ne_u32_e32 vcc_lo, 0, v0
	v_add_nc_u32_e32 v6, -8, v5
	s_waitcnt lgkmcnt(0)
	s_add_u32 s8, s8, s2
	s_addc_u32 s9, s9, s3
	global_load_b64 v[1:2], v5, s[8:9]
	s_load_b32 s8, s[0:1], 0x18
	s_lshl_b64 s[0:1], s[6:7], 2
	s_delay_alu instid0(SALU_CYCLE_1)
	s_add_u32 s0, s10, s0
	s_addc_u32 s1, s11, s1
	s_load_b32 s1, s[0:1], 0x0
	s_waitcnt lgkmcnt(0)
	v_cvt_f32_u32_e32 v3, s8
	s_sub_i32 s7, 0, s8
	s_delay_alu instid0(VALU_DEP_1) | instskip(SKIP_2) | instid1(VALU_DEP_1)
	v_rcp_iflag_f32_e32 v3, v3
	s_waitcnt_depctr 0xfff
	v_mul_f32_e32 v3, 0x4f7ffffe, v3
	v_cvt_u32_f32_e32 v3, v3
	s_delay_alu instid0(VALU_DEP_1) | instskip(NEXT) | instid1(VALU_DEP_1)
	v_readfirstlane_b32 s6, v3
	s_mul_i32 s7, s7, s6
	s_delay_alu instid0(SALU_CYCLE_1) | instskip(NEXT) | instid1(SALU_CYCLE_1)
	s_mul_hi_u32 s7, s6, s7
	s_add_i32 s6, s6, s7
	s_delay_alu instid0(SALU_CYCLE_1) | instskip(NEXT) | instid1(SALU_CYCLE_1)
	s_lshr_b32 s6, s6, 24
	s_mul_i32 s0, s6, s8
	s_add_i32 s7, s6, 1
	s_sub_i32 s0, 0x100, s0
	s_delay_alu instid0(SALU_CYCLE_1)
	s_sub_i32 s9, s0, s8
	s_cmp_ge_u32 s0, s8
	s_cselect_b32 s6, s7, s6
	s_cselect_b32 s0, s9, s0
	s_add_i32 s7, s6, 1
	s_cmp_ge_u32 s0, s8
	s_cselect_b32 s6, s7, s6
	s_max_u32 s7, s8, 1
	s_add_i32 s6, s6, 1
	s_set_inst_prefetch_distance 0x1
	s_branch .LBB144_2
	.p2align	6
.LBB144_1:                              ;   in Loop: Header=BB144_2 Depth=1
	s_or_b32 exec_lo, exec_lo, s0
	s_delay_alu instid0(VALU_DEP_1)
	v_add_f64 v[1:2], v[1:2], v[3:4]
	s_add_i32 s0, s6, s1
	s_add_i32 s7, s7, -1
	s_and_b32 s1, s0, 0xff
	s_cmp_lg_u32 s7, 0
	s_barrier
	buffer_gl0_inv
	s_cbranch_scc0 .LBB144_4
.LBB144_2:                              ; =>This Inner Loop Header: Depth=1
	v_cmp_gt_u32_e64 s0, s1, v0
	s_waitcnt vmcnt(0)
	v_dual_mov_b32 v4, v2 :: v_dual_mov_b32 v3, v1
	ds_store_b64 v5, v[1:2]
	s_waitcnt lgkmcnt(0)
	s_and_b32 s8, vcc_lo, s0
	s_barrier
	buffer_gl0_inv
	s_and_saveexec_b32 s0, s8
	s_cbranch_execz .LBB144_1
; %bb.3:                                ;   in Loop: Header=BB144_2 Depth=1
	ds_load_b64 v[3:4], v6
	s_waitcnt lgkmcnt(0)
	v_add_f64 v[3:4], v[1:2], -v[3:4]
	s_branch .LBB144_1
.LBB144_4:
	s_set_inst_prefetch_distance 0x2
	v_lshlrev_b32_e32 v0, 3, v0
	s_add_u32 s0, s4, s2
	s_addc_u32 s1, s5, s3
	global_store_b64 v0, v[1:2], s[0:1]
	s_nop 0
	s_sendmsg sendmsg(MSG_DEALLOC_VGPRS)
	s_endpgm
	.section	.rodata,"a",@progbits
	.p2align	6, 0x0
	.amdhsa_kernel _Z6kernelI26subtract_left_partial_tileLj256ELj1ELb0EJPdPiS1_jEEvDpT3_
		.amdhsa_group_segment_fixed_size 4096
		.amdhsa_private_segment_fixed_size 0
		.amdhsa_kernarg_size 28
		.amdhsa_user_sgpr_count 15
		.amdhsa_user_sgpr_dispatch_ptr 0
		.amdhsa_user_sgpr_queue_ptr 0
		.amdhsa_user_sgpr_kernarg_segment_ptr 1
		.amdhsa_user_sgpr_dispatch_id 0
		.amdhsa_user_sgpr_private_segment_size 0
		.amdhsa_wavefront_size32 1
		.amdhsa_uses_dynamic_stack 0
		.amdhsa_enable_private_segment 0
		.amdhsa_system_sgpr_workgroup_id_x 1
		.amdhsa_system_sgpr_workgroup_id_y 0
		.amdhsa_system_sgpr_workgroup_id_z 0
		.amdhsa_system_sgpr_workgroup_info 0
		.amdhsa_system_vgpr_workitem_id 0
		.amdhsa_next_free_vgpr 7
		.amdhsa_next_free_sgpr 16
		.amdhsa_reserve_vcc 1
		.amdhsa_float_round_mode_32 0
		.amdhsa_float_round_mode_16_64 0
		.amdhsa_float_denorm_mode_32 3
		.amdhsa_float_denorm_mode_16_64 3
		.amdhsa_dx10_clamp 1
		.amdhsa_ieee_mode 1
		.amdhsa_fp16_overflow 0
		.amdhsa_workgroup_processor_mode 1
		.amdhsa_memory_ordered 1
		.amdhsa_forward_progress 0
		.amdhsa_shared_vgpr_count 0
		.amdhsa_exception_fp_ieee_invalid_op 0
		.amdhsa_exception_fp_denorm_src 0
		.amdhsa_exception_fp_ieee_div_zero 0
		.amdhsa_exception_fp_ieee_overflow 0
		.amdhsa_exception_fp_ieee_underflow 0
		.amdhsa_exception_fp_ieee_inexact 0
		.amdhsa_exception_int_div_zero 0
	.end_amdhsa_kernel
	.section	.text._Z6kernelI26subtract_left_partial_tileLj256ELj1ELb0EJPdPiS1_jEEvDpT3_,"axG",@progbits,_Z6kernelI26subtract_left_partial_tileLj256ELj1ELb0EJPdPiS1_jEEvDpT3_,comdat
.Lfunc_end144:
	.size	_Z6kernelI26subtract_left_partial_tileLj256ELj1ELb0EJPdPiS1_jEEvDpT3_, .Lfunc_end144-_Z6kernelI26subtract_left_partial_tileLj256ELj1ELb0EJPdPiS1_jEEvDpT3_
                                        ; -- End function
	.section	.AMDGPU.csdata,"",@progbits
; Kernel info:
; codeLenInByte = 404
; NumSgprs: 18
; NumVgprs: 7
; ScratchSize: 0
; MemoryBound: 0
; FloatMode: 240
; IeeeMode: 1
; LDSByteSize: 4096 bytes/workgroup (compile time only)
; SGPRBlocks: 2
; VGPRBlocks: 0
; NumSGPRsForWavesPerEU: 18
; NumVGPRsForWavesPerEU: 7
; Occupancy: 16
; WaveLimiterHint : 0
; COMPUTE_PGM_RSRC2:SCRATCH_EN: 0
; COMPUTE_PGM_RSRC2:USER_SGPR: 15
; COMPUTE_PGM_RSRC2:TRAP_HANDLER: 0
; COMPUTE_PGM_RSRC2:TGID_X_EN: 1
; COMPUTE_PGM_RSRC2:TGID_Y_EN: 0
; COMPUTE_PGM_RSRC2:TGID_Z_EN: 0
; COMPUTE_PGM_RSRC2:TIDIG_COMP_CNT: 0
	.section	.text._Z6kernelI26subtract_left_partial_tileLj256ELj3ELb0EJPdPiS1_jEEvDpT3_,"axG",@progbits,_Z6kernelI26subtract_left_partial_tileLj256ELj3ELb0EJPdPiS1_jEEvDpT3_,comdat
	.protected	_Z6kernelI26subtract_left_partial_tileLj256ELj3ELb0EJPdPiS1_jEEvDpT3_ ; -- Begin function _Z6kernelI26subtract_left_partial_tileLj256ELj3ELb0EJPdPiS1_jEEvDpT3_
	.globl	_Z6kernelI26subtract_left_partial_tileLj256ELj3ELb0EJPdPiS1_jEEvDpT3_
	.p2align	8
	.type	_Z6kernelI26subtract_left_partial_tileLj256ELj3ELb0EJPdPiS1_jEEvDpT3_,@function
_Z6kernelI26subtract_left_partial_tileLj256ELj3ELb0EJPdPiS1_jEEvDpT3_: ; @_Z6kernelI26subtract_left_partial_tileLj256ELj3ELb0EJPdPiS1_jEEvDpT3_
; %bb.0:
	s_clause 0x1
	s_load_b128 s[4:7], s[0:1], 0x0
	s_load_b64 s[8:9], s[0:1], 0x10
	s_mov_b32 s13, 0
	s_mul_i32 s12, s15, 0x300
	v_lshlrev_b32_e32 v9, 3, v0
	s_lshl_b64 s[2:3], s[12:13], 3
	s_load_b32 s12, s[0:1], 0x18
	s_mov_b32 s10, s15
	v_mul_u32_u24_e32 v10, 3, v0
	v_mad_u32_u24 v11, v0, 3, 2
	v_mad_u32_u24 v12, v0, 3, 1
	v_add_nc_u32_e32 v13, -8, v9
	s_waitcnt lgkmcnt(0)
	s_add_u32 s4, s4, s2
	s_addc_u32 s5, s5, s3
	v_add_co_u32 v1, s11, s4, v9
	s_delay_alu instid0(VALU_DEP_1) | instskip(SKIP_1) | instid1(VALU_DEP_3)
	v_add_co_ci_u32_e64 v2, null, s5, 0, s11
	v_cvt_f32_u32_e32 v7, s12
	v_add_co_u32 v5, vcc_lo, 0x1000, v1
	s_delay_alu instid0(VALU_DEP_3) | instskip(NEXT) | instid1(VALU_DEP_3)
	v_add_co_ci_u32_e32 v6, vcc_lo, 0, v2, vcc_lo
	v_rcp_iflag_f32_e32 v7, v7
	s_clause 0x2
	global_load_b64 v[1:2], v9, s[4:5]
	global_load_b64 v[3:4], v9, s[4:5] offset:2048
	global_load_b64 v[5:6], v[5:6], off
	s_mov_b32 s11, s13
	v_cmp_ne_u32_e32 vcc_lo, 0, v0
	s_lshl_b64 s[0:1], s[10:11], 2
	s_delay_alu instid0(SALU_CYCLE_1) | instskip(SKIP_3) | instid1(VALU_DEP_1)
	s_add_u32 s0, s6, s0
	s_addc_u32 s1, s7, s1
	s_sub_i32 s5, 0, s12
	v_mul_f32_e32 v7, 0x4f7ffffe, v7
	v_cvt_u32_f32_e32 v7, v7
	s_delay_alu instid0(VALU_DEP_1) | instskip(NEXT) | instid1(VALU_DEP_1)
	v_readfirstlane_b32 s4, v7
	s_mul_i32 s5, s5, s4
	s_delay_alu instid0(SALU_CYCLE_1) | instskip(NEXT) | instid1(SALU_CYCLE_1)
	s_mul_hi_u32 s5, s4, s5
	s_add_i32 s4, s4, s5
	s_delay_alu instid0(SALU_CYCLE_1) | instskip(SKIP_4) | instid1(SALU_CYCLE_1)
	s_mul_hi_u32 s5, s4, 0x300
	s_load_b32 s4, s[0:1], 0x0
	s_mul_i32 s6, s5, s12
	s_add_i32 s1, s5, 1
	s_sub_i32 s0, 0x300, s6
	s_sub_i32 s6, s0, s12
	s_cmp_ge_u32 s0, s12
	s_cselect_b32 s1, s1, s5
	s_cselect_b32 s0, s6, s0
	s_add_i32 s5, s1, 1
	s_cmp_ge_u32 s0, s12
	s_cselect_b32 s5, s5, s1
	s_max_u32 s6, s12, 1
	s_add_i32 s5, s5, 1
	s_set_inst_prefetch_distance 0x1
	s_branch .LBB145_2
	.p2align	6
.LBB145_1:                              ;   in Loop: Header=BB145_2 Depth=1
	s_or_b32 exec_lo, exec_lo, s0
	v_add_f64 v[14:15], v[5:6], -v[3:4]
	v_add_f64 v[16:17], v[3:4], -v[1:2]
	v_cmp_gt_u32_e64 s0, s4, v12
	v_cmp_gt_u32_e64 s1, s4, v11
	v_add_f64 v[1:2], v[1:2], v[7:8]
	s_add_i32 s6, s6, -1
	s_barrier
	buffer_gl0_inv
	v_cndmask_b32_e64 v15, v6, v15, s1
	v_cndmask_b32_e64 v17, v4, v17, s0
	;; [unrolled: 1-line block ×4, first 2 shown]
	s_add_i32 s0, s5, s4
	s_delay_alu instid0(SALU_CYCLE_1) | instskip(NEXT) | instid1(VALU_DEP_2)
	s_mul_hi_u32 s1, s0, 0xaaaaaaab
	v_add_f64 v[3:4], v[3:4], v[16:17]
	s_delay_alu instid0(VALU_DEP_2) | instskip(SKIP_1) | instid1(SALU_CYCLE_1)
	v_add_f64 v[5:6], v[5:6], v[14:15]
	s_lshr_b32 s1, s1, 9
	s_mulk_i32 s1, 0x300
	s_delay_alu instid0(SALU_CYCLE_1)
	s_sub_i32 s4, s0, s1
	s_cmp_lg_u32 s6, 0
	s_cbranch_scc0 .LBB145_4
.LBB145_2:                              ; =>This Inner Loop Header: Depth=1
	s_waitcnt lgkmcnt(0)
	v_cmp_gt_u32_e64 s0, s4, v10
	s_waitcnt vmcnt(2)
	v_dual_mov_b32 v8, v2 :: v_dual_mov_b32 v7, v1
	s_waitcnt vmcnt(0)
	ds_store_b64 v9, v[5:6]
	s_waitcnt lgkmcnt(0)
	s_and_b32 s1, vcc_lo, s0
	s_barrier
	buffer_gl0_inv
	s_and_saveexec_b32 s0, s1
	s_cbranch_execz .LBB145_1
; %bb.3:                                ;   in Loop: Header=BB145_2 Depth=1
	ds_load_b64 v[7:8], v13
	s_waitcnt lgkmcnt(0)
	v_add_f64 v[7:8], v[1:2], -v[7:8]
	s_branch .LBB145_1
.LBB145_4:
	s_set_inst_prefetch_distance 0x2
	v_lshlrev_b32_e32 v0, 3, v0
	s_add_u32 s0, s8, s2
	s_addc_u32 s1, s9, s3
	s_delay_alu instid0(VALU_DEP_1) | instskip(NEXT) | instid1(VALU_DEP_1)
	v_add_co_u32 v7, s2, s0, v0
	v_add_co_ci_u32_e64 v8, null, s1, 0, s2
	s_delay_alu instid0(VALU_DEP_2) | instskip(NEXT) | instid1(VALU_DEP_2)
	v_add_co_u32 v7, vcc_lo, 0x1000, v7
	v_add_co_ci_u32_e32 v8, vcc_lo, 0, v8, vcc_lo
	s_clause 0x2
	global_store_b64 v0, v[1:2], s[0:1]
	global_store_b64 v0, v[3:4], s[0:1] offset:2048
	global_store_b64 v[7:8], v[5:6], off
	s_nop 0
	s_sendmsg sendmsg(MSG_DEALLOC_VGPRS)
	s_endpgm
	.section	.rodata,"a",@progbits
	.p2align	6, 0x0
	.amdhsa_kernel _Z6kernelI26subtract_left_partial_tileLj256ELj3ELb0EJPdPiS1_jEEvDpT3_
		.amdhsa_group_segment_fixed_size 4096
		.amdhsa_private_segment_fixed_size 0
		.amdhsa_kernarg_size 28
		.amdhsa_user_sgpr_count 15
		.amdhsa_user_sgpr_dispatch_ptr 0
		.amdhsa_user_sgpr_queue_ptr 0
		.amdhsa_user_sgpr_kernarg_segment_ptr 1
		.amdhsa_user_sgpr_dispatch_id 0
		.amdhsa_user_sgpr_private_segment_size 0
		.amdhsa_wavefront_size32 1
		.amdhsa_uses_dynamic_stack 0
		.amdhsa_enable_private_segment 0
		.amdhsa_system_sgpr_workgroup_id_x 1
		.amdhsa_system_sgpr_workgroup_id_y 0
		.amdhsa_system_sgpr_workgroup_id_z 0
		.amdhsa_system_sgpr_workgroup_info 0
		.amdhsa_system_vgpr_workitem_id 0
		.amdhsa_next_free_vgpr 18
		.amdhsa_next_free_sgpr 16
		.amdhsa_reserve_vcc 1
		.amdhsa_float_round_mode_32 0
		.amdhsa_float_round_mode_16_64 0
		.amdhsa_float_denorm_mode_32 3
		.amdhsa_float_denorm_mode_16_64 3
		.amdhsa_dx10_clamp 1
		.amdhsa_ieee_mode 1
		.amdhsa_fp16_overflow 0
		.amdhsa_workgroup_processor_mode 1
		.amdhsa_memory_ordered 1
		.amdhsa_forward_progress 0
		.amdhsa_shared_vgpr_count 0
		.amdhsa_exception_fp_ieee_invalid_op 0
		.amdhsa_exception_fp_denorm_src 0
		.amdhsa_exception_fp_ieee_div_zero 0
		.amdhsa_exception_fp_ieee_overflow 0
		.amdhsa_exception_fp_ieee_underflow 0
		.amdhsa_exception_fp_ieee_inexact 0
		.amdhsa_exception_int_div_zero 0
	.end_amdhsa_kernel
	.section	.text._Z6kernelI26subtract_left_partial_tileLj256ELj3ELb0EJPdPiS1_jEEvDpT3_,"axG",@progbits,_Z6kernelI26subtract_left_partial_tileLj256ELj3ELb0EJPdPiS1_jEEvDpT3_,comdat
.Lfunc_end145:
	.size	_Z6kernelI26subtract_left_partial_tileLj256ELj3ELb0EJPdPiS1_jEEvDpT3_, .Lfunc_end145-_Z6kernelI26subtract_left_partial_tileLj256ELj3ELb0EJPdPiS1_jEEvDpT3_
                                        ; -- End function
	.section	.AMDGPU.csdata,"",@progbits
; Kernel info:
; codeLenInByte = 644
; NumSgprs: 18
; NumVgprs: 18
; ScratchSize: 0
; MemoryBound: 0
; FloatMode: 240
; IeeeMode: 1
; LDSByteSize: 4096 bytes/workgroup (compile time only)
; SGPRBlocks: 2
; VGPRBlocks: 2
; NumSGPRsForWavesPerEU: 18
; NumVGPRsForWavesPerEU: 18
; Occupancy: 16
; WaveLimiterHint : 1
; COMPUTE_PGM_RSRC2:SCRATCH_EN: 0
; COMPUTE_PGM_RSRC2:USER_SGPR: 15
; COMPUTE_PGM_RSRC2:TRAP_HANDLER: 0
; COMPUTE_PGM_RSRC2:TGID_X_EN: 1
; COMPUTE_PGM_RSRC2:TGID_Y_EN: 0
; COMPUTE_PGM_RSRC2:TGID_Z_EN: 0
; COMPUTE_PGM_RSRC2:TIDIG_COMP_CNT: 0
	.section	.text._Z6kernelI26subtract_left_partial_tileLj256ELj4ELb0EJPdPiS1_jEEvDpT3_,"axG",@progbits,_Z6kernelI26subtract_left_partial_tileLj256ELj4ELb0EJPdPiS1_jEEvDpT3_,comdat
	.protected	_Z6kernelI26subtract_left_partial_tileLj256ELj4ELb0EJPdPiS1_jEEvDpT3_ ; -- Begin function _Z6kernelI26subtract_left_partial_tileLj256ELj4ELb0EJPdPiS1_jEEvDpT3_
	.globl	_Z6kernelI26subtract_left_partial_tileLj256ELj4ELb0EJPdPiS1_jEEvDpT3_
	.p2align	8
	.type	_Z6kernelI26subtract_left_partial_tileLj256ELj4ELb0EJPdPiS1_jEEvDpT3_,@function
_Z6kernelI26subtract_left_partial_tileLj256ELj4ELb0EJPdPiS1_jEEvDpT3_: ; @_Z6kernelI26subtract_left_partial_tileLj256ELj4ELb0EJPdPiS1_jEEvDpT3_
; %bb.0:
	s_clause 0x1
	s_load_b128 s[4:7], s[0:1], 0x0
	s_load_b64 s[10:11], s[0:1], 0x10
	s_mov_b32 s13, 0
	s_lshl_b32 s12, s15, 10
	v_lshlrev_b32_e32 v11, 3, v0
	s_lshl_b64 s[8:9], s[12:13], 3
	s_mov_b32 s2, s15
	v_lshlrev_b32_e32 v12, 2, v0
	s_delay_alu instid0(VALU_DEP_2) | instskip(NEXT) | instid1(VALU_DEP_2)
	v_add_nc_u32_e32 v16, -8, v11
	v_or_b32_e32 v13, 3, v12
	v_or_b32_e32 v14, 2, v12
	;; [unrolled: 1-line block ×3, first 2 shown]
	s_waitcnt lgkmcnt(0)
	s_add_u32 s4, s4, s8
	s_addc_u32 s5, s5, s9
	v_add_co_u32 v1, s3, s4, v11
	s_delay_alu instid0(VALU_DEP_1) | instskip(SKIP_1) | instid1(VALU_DEP_2)
	v_add_co_ci_u32_e64 v2, null, s5, 0, s3
	s_mov_b32 s3, s13
	v_add_co_u32 v7, vcc_lo, 0x1000, v1
	s_delay_alu instid0(VALU_DEP_2)
	v_add_co_ci_u32_e32 v8, vcc_lo, 0, v2, vcc_lo
	s_clause 0x3
	global_load_b64 v[1:2], v11, s[4:5]
	global_load_b64 v[3:4], v11, s[4:5] offset:2048
	global_load_b64 v[5:6], v[7:8], off
	global_load_b64 v[7:8], v[7:8], off offset:2048
	s_load_b32 s5, s[0:1], 0x18
	s_lshl_b64 s[0:1], s[2:3], 2
	v_cmp_ne_u32_e32 vcc_lo, 0, v0
	s_add_u32 s0, s6, s0
	s_addc_u32 s1, s7, s1
	s_waitcnt lgkmcnt(0)
	v_cvt_f32_u32_e32 v9, s5
	s_sub_i32 s3, 0, s5
	s_delay_alu instid0(VALU_DEP_1) | instskip(SKIP_2) | instid1(VALU_DEP_1)
	v_rcp_iflag_f32_e32 v9, v9
	s_waitcnt_depctr 0xfff
	v_mul_f32_e32 v9, 0x4f7ffffe, v9
	v_cvt_u32_f32_e32 v9, v9
	s_delay_alu instid0(VALU_DEP_1) | instskip(NEXT) | instid1(VALU_DEP_1)
	v_readfirstlane_b32 s2, v9
	s_mul_i32 s3, s3, s2
	s_delay_alu instid0(SALU_CYCLE_1) | instskip(NEXT) | instid1(SALU_CYCLE_1)
	s_mul_hi_u32 s3, s2, s3
	s_add_i32 s2, s2, s3
	s_load_b32 s3, s[0:1], 0x0
	s_lshr_b32 s2, s2, 22
	s_delay_alu instid0(SALU_CYCLE_1) | instskip(SKIP_2) | instid1(SALU_CYCLE_1)
	s_mul_i32 s4, s2, s5
	s_add_i32 s1, s2, 1
	s_sub_i32 s0, 0x400, s4
	s_sub_i32 s4, s0, s5
	s_cmp_ge_u32 s0, s5
	s_cselect_b32 s1, s1, s2
	s_cselect_b32 s0, s4, s0
	s_add_i32 s2, s1, 1
	s_cmp_ge_u32 s0, s5
	s_cselect_b32 s4, s2, s1
	s_max_u32 s5, s5, 1
	s_add_i32 s4, s4, 1
	s_branch .LBB146_2
.LBB146_1:                              ;   in Loop: Header=BB146_2 Depth=1
	s_or_b32 exec_lo, exec_lo, s0
	v_add_f64 v[17:18], v[7:8], -v[5:6]
	v_add_f64 v[19:20], v[5:6], -v[3:4]
	;; [unrolled: 1-line block ×3, first 2 shown]
	v_cmp_gt_u32_e64 s0, s3, v14
	v_cmp_gt_u32_e64 s1, s3, v15
	;; [unrolled: 1-line block ×3, first 2 shown]
	v_add_f64 v[1:2], v[1:2], v[9:10]
	s_add_i32 s5, s5, -1
	s_barrier
	buffer_gl0_inv
	v_cndmask_b32_e64 v18, v8, v18, s2
	v_cndmask_b32_e64 v20, v6, v20, s0
	;; [unrolled: 1-line block ×6, first 2 shown]
	s_add_i32 s0, s4, s3
	s_delay_alu instid0(VALU_DEP_3) | instskip(NEXT) | instid1(VALU_DEP_3)
	v_add_f64 v[3:4], v[3:4], v[21:22]
	v_add_f64 v[5:6], v[5:6], v[19:20]
	s_delay_alu instid0(VALU_DEP_3)
	v_add_f64 v[7:8], v[7:8], v[17:18]
	s_and_b32 s3, s0, 0x3ff
	s_cmp_lg_u32 s5, 0
	s_cbranch_scc0 .LBB146_4
.LBB146_2:                              ; =>This Inner Loop Header: Depth=1
	s_waitcnt lgkmcnt(0)
	v_cmp_gt_u32_e64 s0, s3, v12
	s_waitcnt vmcnt(3)
	v_dual_mov_b32 v10, v2 :: v_dual_mov_b32 v9, v1
	s_waitcnt vmcnt(0)
	ds_store_b64 v11, v[7:8]
	s_waitcnt lgkmcnt(0)
	s_and_b32 s1, vcc_lo, s0
	s_barrier
	buffer_gl0_inv
	s_and_saveexec_b32 s0, s1
	s_cbranch_execz .LBB146_1
; %bb.3:                                ;   in Loop: Header=BB146_2 Depth=1
	ds_load_b64 v[9:10], v16
	s_waitcnt lgkmcnt(0)
	v_add_f64 v[9:10], v[1:2], -v[9:10]
	s_branch .LBB146_1
.LBB146_4:
	v_lshlrev_b32_e32 v0, 3, v0
	s_add_u32 s0, s10, s8
	s_addc_u32 s1, s11, s9
	s_delay_alu instid0(VALU_DEP_1) | instskip(NEXT) | instid1(VALU_DEP_1)
	v_add_co_u32 v9, s2, s0, v0
	v_add_co_ci_u32_e64 v10, null, s1, 0, s2
	s_delay_alu instid0(VALU_DEP_2) | instskip(NEXT) | instid1(VALU_DEP_2)
	v_add_co_u32 v9, vcc_lo, 0x1000, v9
	v_add_co_ci_u32_e32 v10, vcc_lo, 0, v10, vcc_lo
	s_clause 0x3
	global_store_b64 v0, v[1:2], s[0:1]
	global_store_b64 v0, v[3:4], s[0:1] offset:2048
	global_store_b64 v[9:10], v[5:6], off
	global_store_b64 v[9:10], v[7:8], off offset:2048
	s_nop 0
	s_sendmsg sendmsg(MSG_DEALLOC_VGPRS)
	s_endpgm
	.section	.rodata,"a",@progbits
	.p2align	6, 0x0
	.amdhsa_kernel _Z6kernelI26subtract_left_partial_tileLj256ELj4ELb0EJPdPiS1_jEEvDpT3_
		.amdhsa_group_segment_fixed_size 4096
		.amdhsa_private_segment_fixed_size 0
		.amdhsa_kernarg_size 28
		.amdhsa_user_sgpr_count 15
		.amdhsa_user_sgpr_dispatch_ptr 0
		.amdhsa_user_sgpr_queue_ptr 0
		.amdhsa_user_sgpr_kernarg_segment_ptr 1
		.amdhsa_user_sgpr_dispatch_id 0
		.amdhsa_user_sgpr_private_segment_size 0
		.amdhsa_wavefront_size32 1
		.amdhsa_uses_dynamic_stack 0
		.amdhsa_enable_private_segment 0
		.amdhsa_system_sgpr_workgroup_id_x 1
		.amdhsa_system_sgpr_workgroup_id_y 0
		.amdhsa_system_sgpr_workgroup_id_z 0
		.amdhsa_system_sgpr_workgroup_info 0
		.amdhsa_system_vgpr_workitem_id 0
		.amdhsa_next_free_vgpr 23
		.amdhsa_next_free_sgpr 16
		.amdhsa_reserve_vcc 1
		.amdhsa_float_round_mode_32 0
		.amdhsa_float_round_mode_16_64 0
		.amdhsa_float_denorm_mode_32 3
		.amdhsa_float_denorm_mode_16_64 3
		.amdhsa_dx10_clamp 1
		.amdhsa_ieee_mode 1
		.amdhsa_fp16_overflow 0
		.amdhsa_workgroup_processor_mode 1
		.amdhsa_memory_ordered 1
		.amdhsa_forward_progress 0
		.amdhsa_shared_vgpr_count 0
		.amdhsa_exception_fp_ieee_invalid_op 0
		.amdhsa_exception_fp_denorm_src 0
		.amdhsa_exception_fp_ieee_div_zero 0
		.amdhsa_exception_fp_ieee_overflow 0
		.amdhsa_exception_fp_ieee_underflow 0
		.amdhsa_exception_fp_ieee_inexact 0
		.amdhsa_exception_int_div_zero 0
	.end_amdhsa_kernel
	.section	.text._Z6kernelI26subtract_left_partial_tileLj256ELj4ELb0EJPdPiS1_jEEvDpT3_,"axG",@progbits,_Z6kernelI26subtract_left_partial_tileLj256ELj4ELb0EJPdPiS1_jEEvDpT3_,comdat
.Lfunc_end146:
	.size	_Z6kernelI26subtract_left_partial_tileLj256ELj4ELb0EJPdPiS1_jEEvDpT3_, .Lfunc_end146-_Z6kernelI26subtract_left_partial_tileLj256ELj4ELb0EJPdPiS1_jEEvDpT3_
                                        ; -- End function
	.section	.AMDGPU.csdata,"",@progbits
; Kernel info:
; codeLenInByte = 676
; NumSgprs: 18
; NumVgprs: 23
; ScratchSize: 0
; MemoryBound: 0
; FloatMode: 240
; IeeeMode: 1
; LDSByteSize: 4096 bytes/workgroup (compile time only)
; SGPRBlocks: 2
; VGPRBlocks: 2
; NumSGPRsForWavesPerEU: 18
; NumVGPRsForWavesPerEU: 23
; Occupancy: 16
; WaveLimiterHint : 1
; COMPUTE_PGM_RSRC2:SCRATCH_EN: 0
; COMPUTE_PGM_RSRC2:USER_SGPR: 15
; COMPUTE_PGM_RSRC2:TRAP_HANDLER: 0
; COMPUTE_PGM_RSRC2:TGID_X_EN: 1
; COMPUTE_PGM_RSRC2:TGID_Y_EN: 0
; COMPUTE_PGM_RSRC2:TGID_Z_EN: 0
; COMPUTE_PGM_RSRC2:TIDIG_COMP_CNT: 0
	.section	.text._Z6kernelI26subtract_left_partial_tileLj256ELj8ELb0EJPdPiS1_jEEvDpT3_,"axG",@progbits,_Z6kernelI26subtract_left_partial_tileLj256ELj8ELb0EJPdPiS1_jEEvDpT3_,comdat
	.protected	_Z6kernelI26subtract_left_partial_tileLj256ELj8ELb0EJPdPiS1_jEEvDpT3_ ; -- Begin function _Z6kernelI26subtract_left_partial_tileLj256ELj8ELb0EJPdPiS1_jEEvDpT3_
	.globl	_Z6kernelI26subtract_left_partial_tileLj256ELj8ELb0EJPdPiS1_jEEvDpT3_
	.p2align	8
	.type	_Z6kernelI26subtract_left_partial_tileLj256ELj8ELb0EJPdPiS1_jEEvDpT3_,@function
_Z6kernelI26subtract_left_partial_tileLj256ELj8ELb0EJPdPiS1_jEEvDpT3_: ; @_Z6kernelI26subtract_left_partial_tileLj256ELj8ELb0EJPdPiS1_jEEvDpT3_
; %bb.0:
	s_clause 0x1
	s_load_b128 s[4:7], s[0:1], 0x0
	s_load_b64 s[10:11], s[0:1], 0x10
	s_mov_b32 s13, 0
	s_lshl_b32 s12, s15, 11
	v_lshlrev_b32_e32 v19, 3, v0
	s_lshl_b64 s[8:9], s[12:13], 3
	s_mov_b32 s2, s15
	s_delay_alu instid0(VALU_DEP_1)
	v_or_b32_e32 v20, 7, v19
	v_or_b32_e32 v21, 6, v19
	;; [unrolled: 1-line block ×7, first 2 shown]
	v_add_nc_u32_e32 v27, -8, v19
	s_waitcnt lgkmcnt(0)
	s_add_u32 s4, s4, s8
	s_addc_u32 s5, s5, s9
	v_add_co_u32 v5, s3, s4, v19
	s_delay_alu instid0(VALU_DEP_1)
	v_add_co_ci_u32_e64 v6, null, s5, 0, s3
	s_clause 0x1
	global_load_b64 v[3:4], v19, s[4:5]
	global_load_b64 v[1:2], v19, s[4:5] offset:2048
	v_add_co_u32 v7, vcc_lo, 0x1000, v5
	v_add_co_ci_u32_e32 v8, vcc_lo, 0, v6, vcc_lo
	v_add_co_u32 v9, vcc_lo, v5, 0x2000
	v_add_co_ci_u32_e32 v10, vcc_lo, 0, v6, vcc_lo
	;; [unrolled: 2-line block ×4, first 2 shown]
	s_clause 0x5
	global_load_b64 v[5:6], v[9:10], off offset:-4096
	global_load_b64 v[15:16], v[9:10], off
	global_load_b64 v[13:14], v[7:8], off offset:2048
	global_load_b64 v[11:12], v[11:12], off offset:2048
	global_load_b64 v[9:10], v[17:18], off
	global_load_b64 v[7:8], v[17:18], off offset:2048
	s_load_b32 s4, s[0:1], 0x18
	s_mov_b32 s3, s13
	v_cmp_ne_u32_e32 vcc_lo, 0, v0
	s_lshl_b64 s[0:1], s[2:3], 2
	s_delay_alu instid0(SALU_CYCLE_1)
	s_add_u32 s0, s6, s0
	s_addc_u32 s1, s7, s1
	s_load_b32 s5, s[0:1], 0x0
	s_waitcnt lgkmcnt(0)
	v_cvt_f32_u32_e32 v17, s4
	s_sub_i32 s3, 0, s4
	s_delay_alu instid0(VALU_DEP_1) | instskip(SKIP_2) | instid1(VALU_DEP_1)
	v_rcp_iflag_f32_e32 v17, v17
	s_waitcnt_depctr 0xfff
	v_mul_f32_e32 v17, 0x4f7ffffe, v17
	v_cvt_u32_f32_e32 v17, v17
	s_delay_alu instid0(VALU_DEP_1) | instskip(NEXT) | instid1(VALU_DEP_1)
	v_readfirstlane_b32 s2, v17
	s_mul_i32 s3, s3, s2
	s_delay_alu instid0(SALU_CYCLE_1) | instskip(NEXT) | instid1(SALU_CYCLE_1)
	s_mul_hi_u32 s3, s2, s3
	s_add_i32 s2, s2, s3
	s_delay_alu instid0(SALU_CYCLE_1) | instskip(NEXT) | instid1(SALU_CYCLE_1)
	s_lshr_b32 s2, s2, 21
	s_mul_i32 s3, s2, s4
	s_add_i32 s6, s2, 1
	s_sub_i32 s3, 0x800, s3
	s_delay_alu instid0(SALU_CYCLE_1)
	s_sub_i32 s7, s3, s4
	s_cmp_ge_u32 s3, s4
	s_cselect_b32 s0, s6, s2
	s_cselect_b32 s1, s7, s3
	s_add_i32 s2, s0, 1
	s_cmp_ge_u32 s1, s4
	s_cselect_b32 s6, s2, s0
	s_max_u32 s7, s4, 1
	s_add_i32 s6, s6, 1
	s_branch .LBB147_2
.LBB147_1:                              ;   in Loop: Header=BB147_2 Depth=1
	s_or_b32 exec_lo, exec_lo, s0
	v_add_f64 v[28:29], v[7:8], -v[9:10]
	v_add_f64 v[30:31], v[9:10], -v[11:12]
	;; [unrolled: 1-line block ×7, first 2 shown]
	v_cmp_gt_u32_e64 s0, s5, v21
	v_cmp_gt_u32_e64 s1, s5, v20
	;; [unrolled: 1-line block ×4, first 2 shown]
	v_add_f64 v[3:4], v[3:4], v[17:18]
	v_cmp_gt_u32_e64 s4, s5, v24
	s_add_i32 s7, s7, -1
	s_barrier
	buffer_gl0_inv
	v_cndmask_b32_e64 v18, v8, v29, s1
	v_cndmask_b32_e64 v17, v7, v28, s1
	;; [unrolled: 1-line block ×4, first 2 shown]
	v_cmp_gt_u32_e64 s0, s5, v22
	v_cmp_gt_u32_e64 s1, s5, v23
	v_cndmask_b32_e64 v37, v14, v37, s4
	v_cndmask_b32_e64 v39, v6, v39, s2
	;; [unrolled: 1-line block ×10, first 2 shown]
	v_add_f64 v[1:2], v[1:2], v[40:41]
	v_add_f64 v[5:6], v[5:6], v[38:39]
	;; [unrolled: 1-line block ×7, first 2 shown]
	s_add_i32 s0, s6, s5
	s_delay_alu instid0(SALU_CYCLE_1)
	s_and_b32 s5, s0, 0x7ff
	s_cmp_lg_u32 s7, 0
	s_cbranch_scc0 .LBB147_4
.LBB147_2:                              ; =>This Inner Loop Header: Depth=1
	v_cmp_gt_u32_e64 s0, s5, v19
	s_waitcnt vmcnt(7)
	v_dual_mov_b32 v18, v4 :: v_dual_mov_b32 v17, v3
	s_waitcnt vmcnt(0)
	ds_store_b64 v19, v[7:8]
	s_waitcnt lgkmcnt(0)
	s_and_b32 s1, vcc_lo, s0
	s_barrier
	buffer_gl0_inv
	s_and_saveexec_b32 s0, s1
	s_cbranch_execz .LBB147_1
; %bb.3:                                ;   in Loop: Header=BB147_2 Depth=1
	ds_load_b64 v[17:18], v27
	s_waitcnt lgkmcnt(0)
	v_add_f64 v[17:18], v[3:4], -v[17:18]
	s_branch .LBB147_1
.LBB147_4:
	v_lshlrev_b32_e32 v0, 3, v0
	s_add_u32 s0, s10, s8
	s_addc_u32 s1, s11, s9
	s_delay_alu instid0(VALU_DEP_1) | instskip(NEXT) | instid1(VALU_DEP_1)
	v_add_co_u32 v23, s2, s0, v0
	v_add_co_ci_u32_e64 v24, null, s1, 0, s2
	s_delay_alu instid0(VALU_DEP_2) | instskip(NEXT) | instid1(VALU_DEP_2)
	v_add_co_u32 v17, vcc_lo, 0x1000, v23
	v_add_co_ci_u32_e32 v18, vcc_lo, 0, v24, vcc_lo
	v_add_co_u32 v19, vcc_lo, v23, 0x2000
	v_add_co_ci_u32_e32 v20, vcc_lo, 0, v24, vcc_lo
	;; [unrolled: 2-line block ×3, first 2 shown]
	global_store_b64 v[19:20], v[15:16], off
	v_add_co_u32 v15, vcc_lo, 0x3000, v23
	v_add_co_ci_u32_e32 v16, vcc_lo, 0, v24, vcc_lo
	s_clause 0x6
	global_store_b64 v0, v[3:4], s[0:1]
	global_store_b64 v0, v[1:2], s[0:1] offset:2048
	global_store_b64 v[17:18], v[13:14], off offset:2048
	global_store_b64 v[21:22], v[11:12], off offset:2048
	global_store_b64 v[15:16], v[9:10], off
	global_store_b64 v[19:20], v[5:6], off offset:-4096
	global_store_b64 v[15:16], v[7:8], off offset:2048
	s_nop 0
	s_sendmsg sendmsg(MSG_DEALLOC_VGPRS)
	s_endpgm
	.section	.rodata,"a",@progbits
	.p2align	6, 0x0
	.amdhsa_kernel _Z6kernelI26subtract_left_partial_tileLj256ELj8ELb0EJPdPiS1_jEEvDpT3_
		.amdhsa_group_segment_fixed_size 4096
		.amdhsa_private_segment_fixed_size 0
		.amdhsa_kernarg_size 28
		.amdhsa_user_sgpr_count 15
		.amdhsa_user_sgpr_dispatch_ptr 0
		.amdhsa_user_sgpr_queue_ptr 0
		.amdhsa_user_sgpr_kernarg_segment_ptr 1
		.amdhsa_user_sgpr_dispatch_id 0
		.amdhsa_user_sgpr_private_segment_size 0
		.amdhsa_wavefront_size32 1
		.amdhsa_uses_dynamic_stack 0
		.amdhsa_enable_private_segment 0
		.amdhsa_system_sgpr_workgroup_id_x 1
		.amdhsa_system_sgpr_workgroup_id_y 0
		.amdhsa_system_sgpr_workgroup_id_z 0
		.amdhsa_system_sgpr_workgroup_info 0
		.amdhsa_system_vgpr_workitem_id 0
		.amdhsa_next_free_vgpr 42
		.amdhsa_next_free_sgpr 16
		.amdhsa_reserve_vcc 1
		.amdhsa_float_round_mode_32 0
		.amdhsa_float_round_mode_16_64 0
		.amdhsa_float_denorm_mode_32 3
		.amdhsa_float_denorm_mode_16_64 3
		.amdhsa_dx10_clamp 1
		.amdhsa_ieee_mode 1
		.amdhsa_fp16_overflow 0
		.amdhsa_workgroup_processor_mode 1
		.amdhsa_memory_ordered 1
		.amdhsa_forward_progress 0
		.amdhsa_shared_vgpr_count 0
		.amdhsa_exception_fp_ieee_invalid_op 0
		.amdhsa_exception_fp_denorm_src 0
		.amdhsa_exception_fp_ieee_div_zero 0
		.amdhsa_exception_fp_ieee_overflow 0
		.amdhsa_exception_fp_ieee_underflow 0
		.amdhsa_exception_fp_ieee_inexact 0
		.amdhsa_exception_int_div_zero 0
	.end_amdhsa_kernel
	.section	.text._Z6kernelI26subtract_left_partial_tileLj256ELj8ELb0EJPdPiS1_jEEvDpT3_,"axG",@progbits,_Z6kernelI26subtract_left_partial_tileLj256ELj8ELb0EJPdPiS1_jEEvDpT3_,comdat
.Lfunc_end147:
	.size	_Z6kernelI26subtract_left_partial_tileLj256ELj8ELb0EJPdPiS1_jEEvDpT3_, .Lfunc_end147-_Z6kernelI26subtract_left_partial_tileLj256ELj8ELb0EJPdPiS1_jEEvDpT3_
                                        ; -- End function
	.section	.AMDGPU.csdata,"",@progbits
; Kernel info:
; codeLenInByte = 1008
; NumSgprs: 18
; NumVgprs: 42
; ScratchSize: 0
; MemoryBound: 0
; FloatMode: 240
; IeeeMode: 1
; LDSByteSize: 4096 bytes/workgroup (compile time only)
; SGPRBlocks: 2
; VGPRBlocks: 5
; NumSGPRsForWavesPerEU: 18
; NumVGPRsForWavesPerEU: 42
; Occupancy: 16
; WaveLimiterHint : 1
; COMPUTE_PGM_RSRC2:SCRATCH_EN: 0
; COMPUTE_PGM_RSRC2:USER_SGPR: 15
; COMPUTE_PGM_RSRC2:TRAP_HANDLER: 0
; COMPUTE_PGM_RSRC2:TGID_X_EN: 1
; COMPUTE_PGM_RSRC2:TGID_Y_EN: 0
; COMPUTE_PGM_RSRC2:TGID_Z_EN: 0
; COMPUTE_PGM_RSRC2:TIDIG_COMP_CNT: 0
	.section	.text._Z6kernelI26subtract_left_partial_tileLj256ELj16ELb0EJPdPiS1_jEEvDpT3_,"axG",@progbits,_Z6kernelI26subtract_left_partial_tileLj256ELj16ELb0EJPdPiS1_jEEvDpT3_,comdat
	.protected	_Z6kernelI26subtract_left_partial_tileLj256ELj16ELb0EJPdPiS1_jEEvDpT3_ ; -- Begin function _Z6kernelI26subtract_left_partial_tileLj256ELj16ELb0EJPdPiS1_jEEvDpT3_
	.globl	_Z6kernelI26subtract_left_partial_tileLj256ELj16ELb0EJPdPiS1_jEEvDpT3_
	.p2align	8
	.type	_Z6kernelI26subtract_left_partial_tileLj256ELj16ELb0EJPdPiS1_jEEvDpT3_,@function
_Z6kernelI26subtract_left_partial_tileLj256ELj16ELb0EJPdPiS1_jEEvDpT3_: ; @_Z6kernelI26subtract_left_partial_tileLj256ELj16ELb0EJPdPiS1_jEEvDpT3_
; %bb.0:
	s_clause 0x1
	s_load_b128 s[4:7], s[0:1], 0x0
	s_load_b64 s[10:11], s[0:1], 0x10
	s_mov_b32 s13, 0
	s_lshl_b32 s12, s15, 12
	v_lshlrev_b32_e32 v35, 3, v0
	s_lshl_b64 s[8:9], s[12:13], 3
	s_mov_b32 s2, s15
	v_lshlrev_b32_e32 v36, 4, v0
	s_delay_alu instid0(VALU_DEP_2) | instskip(NEXT) | instid1(VALU_DEP_2)
	v_add_nc_u32_e32 v52, -8, v35
	v_or_b32_e32 v37, 15, v36
	v_or_b32_e32 v38, 14, v36
	;; [unrolled: 1-line block ×8, first 2 shown]
	s_waitcnt lgkmcnt(0)
	s_add_u32 s4, s4, s8
	s_addc_u32 s5, s5, s9
	v_add_co_u32 v21, s3, s4, v35
	s_delay_alu instid0(VALU_DEP_1)
	v_add_co_ci_u32_e64 v22, null, s5, 0, s3
	s_clause 0x1
	global_load_b64 v[11:12], v35, s[4:5]
	global_load_b64 v[9:10], v35, s[4:5] offset:2048
	v_add_co_u32 v3, vcc_lo, 0x1000, v21
	v_add_co_ci_u32_e32 v4, vcc_lo, 0, v22, vcc_lo
	v_add_co_u32 v5, vcc_lo, v21, 0x2000
	v_add_co_ci_u32_e32 v6, vcc_lo, 0, v22, vcc_lo
	;; [unrolled: 2-line block ×6, first 2 shown]
	s_clause 0x7
	global_load_b64 v[1:2], v[5:6], off offset:-4096
	global_load_b64 v[27:28], v[5:6], off
	global_load_b64 v[7:8], v[13:14], off offset:-4096
	global_load_b64 v[13:14], v[13:14], off
	global_load_b64 v[31:32], v[3:4], off offset:2048
	global_load_b64 v[29:30], v[15:16], off offset:2048
	;; [unrolled: 1-line block ×4, first 2 shown]
	v_add_co_u32 v15, vcc_lo, 0x5000, v21
	v_add_co_ci_u32_e32 v16, vcc_lo, 0, v22, vcc_lo
	v_add_co_u32 v17, vcc_lo, v21, 0x6000
	v_add_co_ci_u32_e32 v18, vcc_lo, 0, v22, vcc_lo
	;; [unrolled: 2-line block ×4, first 2 shown]
	s_clause 0x5
	global_load_b64 v[25:26], v[17:18], off offset:-4096
	global_load_b64 v[23:24], v[17:18], off
	global_load_b64 v[21:22], v[15:16], off offset:2048
	global_load_b64 v[19:20], v[19:20], off offset:2048
	global_load_b64 v[17:18], v[33:34], off
	global_load_b64 v[15:16], v[33:34], off offset:2048
	s_load_b32 s4, s[0:1], 0x18
	s_mov_b32 s3, s13
	v_or_b32_e32 v45, 7, v36
	s_lshl_b64 s[0:1], s[2:3], 2
	v_or_b32_e32 v46, 6, v36
	s_add_u32 s0, s6, s0
	s_addc_u32 s1, s7, s1
	v_or_b32_e32 v47, 5, v36
	s_load_b32 s12, s[0:1], 0x0
	v_or_b32_e32 v48, 4, v36
	v_or_b32_e32 v49, 3, v36
	;; [unrolled: 1-line block ×4, first 2 shown]
	v_cmp_ne_u32_e32 vcc_lo, 0, v0
	s_waitcnt lgkmcnt(0)
	v_cvt_f32_u32_e32 v33, s4
	s_sub_i32 s3, 0, s4
	s_delay_alu instid0(VALU_DEP_1) | instskip(SKIP_2) | instid1(VALU_DEP_1)
	v_rcp_iflag_f32_e32 v33, v33
	s_waitcnt_depctr 0xfff
	v_mul_f32_e32 v33, 0x4f7ffffe, v33
	v_cvt_u32_f32_e32 v33, v33
	s_delay_alu instid0(VALU_DEP_1) | instskip(NEXT) | instid1(VALU_DEP_1)
	v_readfirstlane_b32 s2, v33
	s_mul_i32 s3, s3, s2
	s_delay_alu instid0(SALU_CYCLE_1) | instskip(NEXT) | instid1(SALU_CYCLE_1)
	s_mul_hi_u32 s3, s2, s3
	s_add_i32 s2, s2, s3
	s_delay_alu instid0(SALU_CYCLE_1) | instskip(NEXT) | instid1(SALU_CYCLE_1)
	s_lshr_b32 s2, s2, 20
	s_mul_i32 s3, s2, s4
	s_add_i32 s5, s2, 1
	s_sub_i32 s3, 0x1000, s3
	s_delay_alu instid0(SALU_CYCLE_1)
	s_sub_i32 s6, s3, s4
	s_cmp_ge_u32 s3, s4
	s_cselect_b32 s2, s5, s2
	s_cselect_b32 s3, s6, s3
	s_add_i32 s5, s2, 1
	s_cmp_ge_u32 s3, s4
	s_cselect_b32 s13, s5, s2
	s_max_u32 s14, s4, 1
	s_add_i32 s13, s13, 1
	s_branch .LBB148_2
.LBB148_1:                              ;   in Loop: Header=BB148_2 Depth=1
	s_or_b32 exec_lo, exec_lo, s0
	v_add_f64 v[55:56], v[17:18], -v[19:20]
	v_add_f64 v[57:58], v[19:20], -v[23:24]
	;; [unrolled: 1-line block ×15, first 2 shown]
	v_cmp_gt_u32_e64 s0, s12, v38
	v_cmp_gt_u32_e64 s1, s12, v39
	;; [unrolled: 1-line block ×8, first 2 shown]
	v_add_f64 v[11:12], v[11:12], v[33:34]
	s_add_i32 s14, s14, -1
	s_barrier
	buffer_gl0_inv
	v_cndmask_b32_e64 v56, v18, v56, s0
	v_cndmask_b32_e64 v55, v17, v55, s0
	;; [unrolled: 1-line block ×6, first 2 shown]
	v_cmp_gt_u32_e64 s0, s12, v45
	v_cmp_gt_u32_e64 s1, s12, v46
	;; [unrolled: 1-line block ×3, first 2 shown]
	v_cndmask_b32_e64 v62, v22, v62, s3
	v_cndmask_b32_e64 v61, v21, v61, s3
	;; [unrolled: 1-line block ×8, first 2 shown]
	v_cmp_gt_u32_e64 s0, s12, v48
	v_cmp_gt_u32_e64 s1, s12, v50
	;; [unrolled: 1-line block ×4, first 2 shown]
	v_cndmask_b32_e64 v54, v16, v54, s4
	v_cndmask_b32_e64 v53, v15, v53, s4
	;; [unrolled: 1-line block ×16, first 2 shown]
	v_add_f64 v[29:30], v[29:30], v[73:74]
	v_add_f64 v[9:10], v[9:10], v[81:82]
	;; [unrolled: 1-line block ×15, first 2 shown]
	s_add_i32 s0, s13, s12
	s_delay_alu instid0(SALU_CYCLE_1)
	s_and_b32 s12, s0, 0xfff
	s_cmp_lg_u32 s14, 0
	s_cbranch_scc0 .LBB148_4
.LBB148_2:                              ; =>This Inner Loop Header: Depth=1
	v_cmp_gt_u32_e64 s0, s12, v36
	s_waitcnt vmcnt(15)
	v_dual_mov_b32 v34, v12 :: v_dual_mov_b32 v33, v11
	s_waitcnt vmcnt(0)
	ds_store_b64 v35, v[15:16]
	s_waitcnt lgkmcnt(0)
	s_and_b32 s1, vcc_lo, s0
	s_barrier
	buffer_gl0_inv
	s_and_saveexec_b32 s0, s1
	s_cbranch_execz .LBB148_1
; %bb.3:                                ;   in Loop: Header=BB148_2 Depth=1
	ds_load_b64 v[33:34], v52
	s_waitcnt lgkmcnt(0)
	v_add_f64 v[33:34], v[11:12], -v[33:34]
	s_branch .LBB148_1
.LBB148_4:
	v_lshlrev_b32_e32 v0, 3, v0
	s_add_u32 s0, s10, s8
	s_addc_u32 s1, s11, s9
	s_delay_alu instid0(VALU_DEP_1) | instskip(NEXT) | instid1(VALU_DEP_1)
	v_add_co_u32 v39, s2, s0, v0
	v_add_co_ci_u32_e64 v40, null, s1, 0, s2
	s_delay_alu instid0(VALU_DEP_2) | instskip(NEXT) | instid1(VALU_DEP_2)
	v_add_co_u32 v33, vcc_lo, 0x1000, v39
	v_add_co_ci_u32_e32 v34, vcc_lo, 0, v40, vcc_lo
	v_add_co_u32 v35, vcc_lo, v39, 0x2000
	v_add_co_ci_u32_e32 v36, vcc_lo, 0, v40, vcc_lo
	;; [unrolled: 2-line block ×3, first 2 shown]
	s_clause 0x4
	global_store_b64 v[35:36], v[27:28], off
	global_store_b64 v0, v[11:12], s[0:1]
	global_store_b64 v0, v[9:10], s[0:1] offset:2048
	global_store_b64 v[33:34], v[31:32], off offset:2048
	global_store_b64 v[37:38], v[29:30], off offset:2048
	v_add_co_u32 v9, vcc_lo, 0x3000, v39
	v_add_co_ci_u32_e32 v10, vcc_lo, 0, v40, vcc_lo
	v_add_co_u32 v11, vcc_lo, v39, 0x4000
	v_add_co_ci_u32_e32 v12, vcc_lo, 0, v40, vcc_lo
	;; [unrolled: 2-line block ×6, first 2 shown]
	s_clause 0x3
	global_store_b64 v[11:12], v[7:8], off offset:-4096
	global_store_b64 v[11:12], v[13:14], off
	global_store_b64 v[31:32], v[25:26], off offset:-4096
	global_store_b64 v[31:32], v[23:24], off
	v_add_co_u32 v7, vcc_lo, 0x7000, v39
	v_add_co_ci_u32_e32 v8, vcc_lo, 0, v40, vcc_lo
	s_clause 0x6
	global_store_b64 v[9:10], v[5:6], off offset:2048
	global_store_b64 v[27:28], v[3:4], off offset:2048
	;; [unrolled: 1-line block ×4, first 2 shown]
	global_store_b64 v[7:8], v[17:18], off
	global_store_b64 v[35:36], v[1:2], off offset:-4096
	global_store_b64 v[7:8], v[15:16], off offset:2048
	s_nop 0
	s_sendmsg sendmsg(MSG_DEALLOC_VGPRS)
	s_endpgm
	.section	.rodata,"a",@progbits
	.p2align	6, 0x0
	.amdhsa_kernel _Z6kernelI26subtract_left_partial_tileLj256ELj16ELb0EJPdPiS1_jEEvDpT3_
		.amdhsa_group_segment_fixed_size 4096
		.amdhsa_private_segment_fixed_size 0
		.amdhsa_kernarg_size 28
		.amdhsa_user_sgpr_count 15
		.amdhsa_user_sgpr_dispatch_ptr 0
		.amdhsa_user_sgpr_queue_ptr 0
		.amdhsa_user_sgpr_kernarg_segment_ptr 1
		.amdhsa_user_sgpr_dispatch_id 0
		.amdhsa_user_sgpr_private_segment_size 0
		.amdhsa_wavefront_size32 1
		.amdhsa_uses_dynamic_stack 0
		.amdhsa_enable_private_segment 0
		.amdhsa_system_sgpr_workgroup_id_x 1
		.amdhsa_system_sgpr_workgroup_id_y 0
		.amdhsa_system_sgpr_workgroup_id_z 0
		.amdhsa_system_sgpr_workgroup_info 0
		.amdhsa_system_vgpr_workitem_id 0
		.amdhsa_next_free_vgpr 83
		.amdhsa_next_free_sgpr 16
		.amdhsa_reserve_vcc 1
		.amdhsa_float_round_mode_32 0
		.amdhsa_float_round_mode_16_64 0
		.amdhsa_float_denorm_mode_32 3
		.amdhsa_float_denorm_mode_16_64 3
		.amdhsa_dx10_clamp 1
		.amdhsa_ieee_mode 1
		.amdhsa_fp16_overflow 0
		.amdhsa_workgroup_processor_mode 1
		.amdhsa_memory_ordered 1
		.amdhsa_forward_progress 0
		.amdhsa_shared_vgpr_count 0
		.amdhsa_exception_fp_ieee_invalid_op 0
		.amdhsa_exception_fp_denorm_src 0
		.amdhsa_exception_fp_ieee_div_zero 0
		.amdhsa_exception_fp_ieee_overflow 0
		.amdhsa_exception_fp_ieee_underflow 0
		.amdhsa_exception_fp_ieee_inexact 0
		.amdhsa_exception_int_div_zero 0
	.end_amdhsa_kernel
	.section	.text._Z6kernelI26subtract_left_partial_tileLj256ELj16ELb0EJPdPiS1_jEEvDpT3_,"axG",@progbits,_Z6kernelI26subtract_left_partial_tileLj256ELj16ELb0EJPdPiS1_jEEvDpT3_,comdat
.Lfunc_end148:
	.size	_Z6kernelI26subtract_left_partial_tileLj256ELj16ELb0EJPdPiS1_jEEvDpT3_, .Lfunc_end148-_Z6kernelI26subtract_left_partial_tileLj256ELj16ELb0EJPdPiS1_jEEvDpT3_
                                        ; -- End function
	.section	.AMDGPU.csdata,"",@progbits
; Kernel info:
; codeLenInByte = 1692
; NumSgprs: 18
; NumVgprs: 83
; ScratchSize: 0
; MemoryBound: 0
; FloatMode: 240
; IeeeMode: 1
; LDSByteSize: 4096 bytes/workgroup (compile time only)
; SGPRBlocks: 2
; VGPRBlocks: 10
; NumSGPRsForWavesPerEU: 18
; NumVGPRsForWavesPerEU: 83
; Occupancy: 16
; WaveLimiterHint : 1
; COMPUTE_PGM_RSRC2:SCRATCH_EN: 0
; COMPUTE_PGM_RSRC2:USER_SGPR: 15
; COMPUTE_PGM_RSRC2:TRAP_HANDLER: 0
; COMPUTE_PGM_RSRC2:TGID_X_EN: 1
; COMPUTE_PGM_RSRC2:TGID_Y_EN: 0
; COMPUTE_PGM_RSRC2:TGID_Z_EN: 0
; COMPUTE_PGM_RSRC2:TIDIG_COMP_CNT: 0
	.section	.text._Z6kernelI26subtract_left_partial_tileLj256ELj32ELb0EJPdPiS1_jEEvDpT3_,"axG",@progbits,_Z6kernelI26subtract_left_partial_tileLj256ELj32ELb0EJPdPiS1_jEEvDpT3_,comdat
	.protected	_Z6kernelI26subtract_left_partial_tileLj256ELj32ELb0EJPdPiS1_jEEvDpT3_ ; -- Begin function _Z6kernelI26subtract_left_partial_tileLj256ELj32ELb0EJPdPiS1_jEEvDpT3_
	.globl	_Z6kernelI26subtract_left_partial_tileLj256ELj32ELb0EJPdPiS1_jEEvDpT3_
	.p2align	8
	.type	_Z6kernelI26subtract_left_partial_tileLj256ELj32ELb0EJPdPiS1_jEEvDpT3_,@function
_Z6kernelI26subtract_left_partial_tileLj256ELj32ELb0EJPdPiS1_jEEvDpT3_: ; @_Z6kernelI26subtract_left_partial_tileLj256ELj32ELb0EJPdPiS1_jEEvDpT3_
; %bb.0:
	s_clause 0x1
	s_load_b128 s[4:7], s[0:1], 0x0
	s_load_b64 s[10:11], s[0:1], 0x10
	s_mov_b32 s13, 0
	s_lshl_b32 s12, s15, 13
	v_lshlrev_b32_e32 v67, 3, v0
	s_lshl_b64 s[8:9], s[12:13], 3
	s_mov_b32 s2, s15
	v_lshlrev_b32_e32 v68, 5, v0
	s_delay_alu instid0(VALU_DEP_2) | instskip(NEXT) | instid1(VALU_DEP_2)
	v_add_nc_u32_e32 v100, -8, v67
	v_or_b32_e32 v69, 31, v68
	v_or_b32_e32 v70, 30, v68
	;; [unrolled: 1-line block ×8, first 2 shown]
	s_waitcnt lgkmcnt(0)
	s_add_u32 s4, s4, s8
	s_addc_u32 s5, s5, s9
	v_add_co_u32 v49, s3, s4, v67
	s_delay_alu instid0(VALU_DEP_1) | instskip(SKIP_1) | instid1(VALU_DEP_2)
	v_add_co_ci_u32_e64 v50, null, s5, 0, s3
	s_mov_b32 s3, s13
	v_add_co_u32 v3, vcc_lo, 0x1000, v49
	s_delay_alu instid0(VALU_DEP_2)
	v_add_co_ci_u32_e32 v4, vcc_lo, 0, v50, vcc_lo
	v_add_co_u32 v5, vcc_lo, v49, 0x2000
	v_add_co_ci_u32_e32 v6, vcc_lo, 0, v50, vcc_lo
	v_add_co_u32 v7, vcc_lo, 0x2000, v49
	v_add_co_ci_u32_e32 v8, vcc_lo, 0, v50, vcc_lo
	v_add_co_u32 v9, vcc_lo, 0x3000, v49
	v_add_co_ci_u32_e32 v10, vcc_lo, 0, v50, vcc_lo
	v_add_co_u32 v11, vcc_lo, v49, 0x4000
	v_add_co_ci_u32_e32 v12, vcc_lo, 0, v50, vcc_lo
	v_add_co_u32 v15, vcc_lo, 0x4000, v49
	v_add_co_ci_u32_e32 v16, vcc_lo, 0, v50, vcc_lo
	s_clause 0x7
	global_load_b64 v[1:2], v[5:6], off offset:-4096
	global_load_b64 v[21:22], v[5:6], off
	global_load_b64 v[13:14], v[11:12], off offset:-4096
	global_load_b64 v[17:18], v[11:12], off
	global_load_b64 v[31:32], v[3:4], off offset:2048
	global_load_b64 v[29:30], v[7:8], off offset:2048
	global_load_b64 v[11:12], v[9:10], off offset:2048
	global_load_b64 v[9:10], v[15:16], off offset:2048
	v_add_co_u32 v3, vcc_lo, 0x5000, v49
	v_add_co_ci_u32_e32 v4, vcc_lo, 0, v50, vcc_lo
	v_add_co_u32 v5, vcc_lo, v49, 0x6000
	v_add_co_ci_u32_e32 v6, vcc_lo, 0, v50, vcc_lo
	v_add_co_u32 v23, vcc_lo, 0x6000, v49
	v_add_co_ci_u32_e32 v24, vcc_lo, 0, v50, vcc_lo
	v_add_co_u32 v33, vcc_lo, 0x7000, v49
	v_add_co_ci_u32_e32 v34, vcc_lo, 0, v50, vcc_lo
	v_add_co_u32 v15, vcc_lo, v49, 0x8000
	v_add_co_ci_u32_e32 v16, vcc_lo, 0, v50, vcc_lo
	v_add_co_u32 v35, vcc_lo, 0x8000, v49
	v_add_co_ci_u32_e32 v36, vcc_lo, 0, v50, vcc_lo
	s_clause 0x7
	global_load_b64 v[27:28], v[5:6], off offset:-4096
	global_load_b64 v[19:20], v[5:6], off
	global_load_b64 v[7:8], v[15:16], off offset:-4096
	global_load_b64 v[15:16], v[15:16], off
	global_load_b64 v[25:26], v[3:4], off offset:2048
	global_load_b64 v[23:24], v[23:24], off offset:2048
	global_load_b64 v[5:6], v[33:34], off offset:2048
	global_load_b64 v[3:4], v[35:36], off offset:2048
	v_add_co_u32 v33, vcc_lo, 0x9000, v49
	;; [unrolled: 21-line block ×3, first 2 shown]
	v_add_co_ci_u32_e32 v42, vcc_lo, 0, v50, vcc_lo
	v_add_co_u32 v43, vcc_lo, v49, 0xe000
	v_add_co_ci_u32_e32 v44, vcc_lo, 0, v50, vcc_lo
	v_add_co_u32 v47, vcc_lo, 0xe000, v49
	;; [unrolled: 2-line block ×3, first 2 shown]
	v_add_co_ci_u32_e32 v62, vcc_lo, 0, v50, vcc_lo
	s_clause 0x7
	global_load_b64 v[51:52], v[43:44], off offset:-4096
	global_load_b64 v[45:46], v[43:44], off
	global_load_b64 v[49:50], v[41:42], off offset:2048
	global_load_b64 v[47:48], v[47:48], off offset:2048
	global_load_b64 v[43:44], v[61:62], off
	global_load_b64 v[41:42], v[61:62], off offset:2048
	global_load_b64 v[63:64], v67, s[4:5]
	global_load_b64 v[61:62], v67, s[4:5] offset:2048
	s_load_b32 s4, s[0:1], 0x18
	s_lshl_b64 s[0:1], s[2:3], 2
	v_or_b32_e32 v77, 23, v68
	s_add_u32 s0, s6, s0
	s_addc_u32 s1, s7, s1
	v_or_b32_e32 v78, 22, v68
	s_load_b32 s7, s[0:1], 0x0
	v_or_b32_e32 v79, 21, v68
	v_or_b32_e32 v80, 20, v68
	;; [unrolled: 1-line block ×13, first 2 shown]
	s_waitcnt lgkmcnt(0)
	v_cvt_f32_u32_e32 v65, s4
	s_sub_i32 s3, 0, s4
	v_or_b32_e32 v92, 8, v68
	v_or_b32_e32 v93, 7, v68
	;; [unrolled: 1-line block ×3, first 2 shown]
	v_rcp_iflag_f32_e32 v65, v65
	v_or_b32_e32 v95, 5, v68
	v_or_b32_e32 v96, 4, v68
	v_or_b32_e32 v97, 3, v68
	v_cmp_ne_u32_e32 vcc_lo, 0, v0
	v_or_b32_e32 v98, 2, v68
	v_or_b32_e32 v99, 1, v68
	s_delay_alu instid0(TRANS32_DEP_1) | instskip(NEXT) | instid1(VALU_DEP_1)
	v_mul_f32_e32 v65, 0x4f7ffffe, v65
	v_cvt_u32_f32_e32 v65, v65
	s_delay_alu instid0(VALU_DEP_1) | instskip(NEXT) | instid1(VALU_DEP_1)
	v_readfirstlane_b32 s2, v65
	s_mul_i32 s3, s3, s2
	s_delay_alu instid0(SALU_CYCLE_1) | instskip(NEXT) | instid1(SALU_CYCLE_1)
	s_mul_hi_u32 s3, s2, s3
	s_add_i32 s2, s2, s3
	s_delay_alu instid0(SALU_CYCLE_1) | instskip(NEXT) | instid1(SALU_CYCLE_1)
	s_lshr_b32 s2, s2, 19
	s_mul_i32 s3, s2, s4
	s_add_i32 s5, s2, 1
	s_sub_i32 s3, 0x2000, s3
	s_delay_alu instid0(SALU_CYCLE_1)
	s_sub_i32 s6, s3, s4
	s_cmp_ge_u32 s3, s4
	s_cselect_b32 s2, s5, s2
	s_cselect_b32 s3, s6, s3
	s_add_i32 s5, s2, 1
	s_cmp_ge_u32 s3, s4
	s_cselect_b32 s12, s5, s2
	s_max_u32 s13, s4, 1
	s_add_i32 s12, s12, 1
	s_branch .LBB149_2
.LBB149_1:                              ;   in Loop: Header=BB149_2 Depth=1
	s_or_b32 exec_lo, exec_lo, s0
	v_add_f64 v[103:104], v[43:44], -v[47:48]
	v_add_f64 v[105:106], v[47:48], -v[45:46]
	;; [unrolled: 1-line block ×15, first 2 shown]
	v_cmp_gt_u32_e64 s0, s7, v70
	v_cmp_gt_u32_e64 s1, s7, v71
	v_add_f64 v[119:120], v[39:40], -v[55:56]
	v_add_f64 v[143:144], v[27:28], -v[9:10]
	;; [unrolled: 1-line block ×16, first 2 shown]
	v_cmp_gt_u32_e64 s2, s7, v72
	v_cmp_gt_u32_e64 s3, s7, v73
	;; [unrolled: 1-line block ×5, first 2 shown]
	v_cndmask_b32_e64 v104, v44, v104, s0
	v_cndmask_b32_e64 v103, v43, v103, s0
	;; [unrolled: 1-line block ×4, first 2 shown]
	v_cmp_gt_u32_e64 s0, s7, v76
	v_cmp_gt_u32_e64 s1, s7, v77
	v_add_f64 v[63:64], v[63:64], v[65:66]
	v_add_f64 v[43:44], v[43:44], v[103:104]
	v_add_f64 v[47:48], v[47:48], v[105:106]
	v_cndmask_b32_e64 v116, v38, v116, s0
	v_cndmask_b32_e64 v115, v37, v115, s0
	v_cndmask_b32_e64 v118, v36, v118, s1
	v_cndmask_b32_e64 v117, v35, v117, s1
	v_cmp_gt_u32_e64 s0, s7, v79
	v_cmp_gt_u32_e64 s1, s7, v80
	v_cndmask_b32_e64 v108, v46, v108, s2
	v_cndmask_b32_e64 v107, v45, v107, s2
	v_cmp_gt_u32_e64 s2, s7, v78
	v_cndmask_b32_e64 v122, v56, v122, s0
	v_cndmask_b32_e64 v121, v55, v121, s0
	v_cndmask_b32_e64 v124, v54, v124, s1
	v_cndmask_b32_e64 v123, v53, v123, s1
	v_cmp_gt_u32_e64 s0, s7, v81
	v_cmp_gt_u32_e64 s1, s7, v82
	v_cndmask_b32_e64 v120, v40, v120, s2
	v_cndmask_b32_e64 v119, v39, v119, s2
	v_cmp_gt_u32_e64 s2, s7, v84
	;; [unrolled: 9-line block ×4, first 2 shown]
	v_cndmask_b32_e64 v136, v8, v136, s0
	v_cndmask_b32_e64 v135, v7, v135, s0
	v_cmp_gt_u32_e64 s0, s7, v88
	v_cndmask_b32_e64 v138, v24, v138, s1
	v_cndmask_b32_e64 v137, v23, v137, s1
	v_cmp_gt_u32_e64 s1, s7, v89
	v_cndmask_b32_e64 v102, v42, v102, s6
	v_cndmask_b32_e64 v140, v20, v140, s0
	v_cndmask_b32_e64 v139, v19, v139, s0
	v_cmp_gt_u32_e64 s0, s7, v90
	v_cndmask_b32_e64 v142, v26, v142, s1
	v_cndmask_b32_e64 v141, v25, v141, s1
	v_cmp_gt_u32_e64 s1, s7, v91
	v_cndmask_b32_e64 v101, v41, v101, s6
	;; [unrolled: 7-line block ×5, first 2 shown]
	v_cndmask_b32_e64 v111, v51, v111, s4
	v_cndmask_b32_e64 v114, v34, v114, s5
	;; [unrolled: 1-line block ×9, first 2 shown]
	v_add_f64 v[31:32], v[31:32], v[155:156]
	v_add_f64 v[61:62], v[61:62], v[159:160]
	;; [unrolled: 1-line block ×29, first 2 shown]
	s_add_i32 s0, s12, s7
	s_add_i32 s13, s13, -1
	s_and_b32 s7, s0, 0x1fff
	s_cmp_lg_u32 s13, 0
	s_barrier
	buffer_gl0_inv
	s_cbranch_scc0 .LBB149_4
.LBB149_2:                              ; =>This Inner Loop Header: Depth=1
	v_cmp_gt_u32_e64 s0, s7, v68
	s_waitcnt vmcnt(1)
	v_dual_mov_b32 v66, v64 :: v_dual_mov_b32 v65, v63
	ds_store_b64 v67, v[41:42]
	s_waitcnt vmcnt(0) lgkmcnt(0)
	s_and_b32 s1, vcc_lo, s0
	s_barrier
	buffer_gl0_inv
	s_and_saveexec_b32 s0, s1
	s_cbranch_execz .LBB149_1
; %bb.3:                                ;   in Loop: Header=BB149_2 Depth=1
	ds_load_b64 v[65:66], v100
	s_waitcnt lgkmcnt(0)
	v_add_f64 v[65:66], v[63:64], -v[65:66]
	s_branch .LBB149_1
.LBB149_4:
	v_lshlrev_b32_e32 v0, 3, v0
	s_add_u32 s0, s10, s8
	s_addc_u32 s1, s11, s9
	s_delay_alu instid0(VALU_DEP_1) | instskip(NEXT) | instid1(VALU_DEP_1)
	v_add_co_u32 v71, s2, s0, v0
	v_add_co_ci_u32_e64 v72, null, s1, 0, s2
	s_delay_alu instid0(VALU_DEP_2) | instskip(NEXT) | instid1(VALU_DEP_2)
	v_add_co_u32 v65, vcc_lo, 0x1000, v71
	v_add_co_ci_u32_e32 v66, vcc_lo, 0, v72, vcc_lo
	v_add_co_u32 v67, vcc_lo, v71, 0x2000
	v_add_co_ci_u32_e32 v68, vcc_lo, 0, v72, vcc_lo
	v_add_co_u32 v69, vcc_lo, 0x2000, v71
	v_add_co_ci_u32_e32 v70, vcc_lo, 0, v72, vcc_lo
	s_clause 0x4
	global_store_b64 v[67:68], v[21:22], off
	global_store_b64 v0, v[63:64], s[0:1]
	global_store_b64 v0, v[61:62], s[0:1] offset:2048
	global_store_b64 v[65:66], v[31:32], off offset:2048
	global_store_b64 v[69:70], v[29:30], off offset:2048
	v_add_co_u32 v21, vcc_lo, 0x3000, v71
	v_add_co_ci_u32_e32 v22, vcc_lo, 0, v72, vcc_lo
	v_add_co_u32 v29, vcc_lo, v71, 0x4000
	v_add_co_ci_u32_e32 v30, vcc_lo, 0, v72, vcc_lo
	;; [unrolled: 2-line block ×6, first 2 shown]
	s_clause 0x7
	global_store_b64 v[29:30], v[13:14], off offset:-4096
	global_store_b64 v[29:30], v[17:18], off
	global_store_b64 v[63:64], v[27:28], off offset:-4096
	global_store_b64 v[63:64], v[19:20], off
	global_store_b64 v[21:22], v[11:12], off offset:2048
	global_store_b64 v[31:32], v[9:10], off offset:2048
	;; [unrolled: 1-line block ×4, first 2 shown]
	v_add_co_u32 v9, vcc_lo, 0x7000, v71
	v_add_co_ci_u32_e32 v10, vcc_lo, 0, v72, vcc_lo
	v_add_co_u32 v11, vcc_lo, v71, 0x8000
	v_add_co_ci_u32_e32 v12, vcc_lo, 0, v72, vcc_lo
	;; [unrolled: 2-line block ×6, first 2 shown]
	s_clause 0x7
	global_store_b64 v[11:12], v[7:8], off offset:-4096
	global_store_b64 v[11:12], v[15:16], off
	global_store_b64 v[19:20], v[59:60], off offset:-4096
	global_store_b64 v[19:20], v[53:54], off
	global_store_b64 v[9:10], v[5:6], off offset:2048
	global_store_b64 v[13:14], v[3:4], off offset:2048
	;; [unrolled: 1-line block ×4, first 2 shown]
	v_add_co_u32 v3, vcc_lo, 0xb000, v71
	v_add_co_ci_u32_e32 v4, vcc_lo, 0, v72, vcc_lo
	v_add_co_u32 v5, vcc_lo, v71, 0xc000
	v_add_co_ci_u32_e32 v6, vcc_lo, 0, v72, vcc_lo
	;; [unrolled: 2-line block ×6, first 2 shown]
	s_clause 0x3
	global_store_b64 v[5:6], v[39:40], off offset:-4096
	global_store_b64 v[5:6], v[37:38], off
	global_store_b64 v[11:12], v[51:52], off offset:-4096
	global_store_b64 v[11:12], v[45:46], off
	v_add_co_u32 v5, vcc_lo, 0xf000, v71
	v_add_co_ci_u32_e32 v6, vcc_lo, 0, v72, vcc_lo
	s_clause 0x6
	global_store_b64 v[3:4], v[35:36], off offset:2048
	global_store_b64 v[7:8], v[33:34], off offset:2048
	;; [unrolled: 1-line block ×4, first 2 shown]
	global_store_b64 v[5:6], v[43:44], off
	global_store_b64 v[67:68], v[1:2], off offset:-4096
	global_store_b64 v[5:6], v[41:42], off offset:2048
	s_nop 0
	s_sendmsg sendmsg(MSG_DEALLOC_VGPRS)
	s_endpgm
	.section	.rodata,"a",@progbits
	.p2align	6, 0x0
	.amdhsa_kernel _Z6kernelI26subtract_left_partial_tileLj256ELj32ELb0EJPdPiS1_jEEvDpT3_
		.amdhsa_group_segment_fixed_size 4096
		.amdhsa_private_segment_fixed_size 0
		.amdhsa_kernarg_size 28
		.amdhsa_user_sgpr_count 15
		.amdhsa_user_sgpr_dispatch_ptr 0
		.amdhsa_user_sgpr_queue_ptr 0
		.amdhsa_user_sgpr_kernarg_segment_ptr 1
		.amdhsa_user_sgpr_dispatch_id 0
		.amdhsa_user_sgpr_private_segment_size 0
		.amdhsa_wavefront_size32 1
		.amdhsa_uses_dynamic_stack 0
		.amdhsa_enable_private_segment 0
		.amdhsa_system_sgpr_workgroup_id_x 1
		.amdhsa_system_sgpr_workgroup_id_y 0
		.amdhsa_system_sgpr_workgroup_id_z 0
		.amdhsa_system_sgpr_workgroup_info 0
		.amdhsa_system_vgpr_workitem_id 0
		.amdhsa_next_free_vgpr 163
		.amdhsa_next_free_sgpr 16
		.amdhsa_reserve_vcc 1
		.amdhsa_float_round_mode_32 0
		.amdhsa_float_round_mode_16_64 0
		.amdhsa_float_denorm_mode_32 3
		.amdhsa_float_denorm_mode_16_64 3
		.amdhsa_dx10_clamp 1
		.amdhsa_ieee_mode 1
		.amdhsa_fp16_overflow 0
		.amdhsa_workgroup_processor_mode 1
		.amdhsa_memory_ordered 1
		.amdhsa_forward_progress 0
		.amdhsa_shared_vgpr_count 0
		.amdhsa_exception_fp_ieee_invalid_op 0
		.amdhsa_exception_fp_denorm_src 0
		.amdhsa_exception_fp_ieee_div_zero 0
		.amdhsa_exception_fp_ieee_overflow 0
		.amdhsa_exception_fp_ieee_underflow 0
		.amdhsa_exception_fp_ieee_inexact 0
		.amdhsa_exception_int_div_zero 0
	.end_amdhsa_kernel
	.section	.text._Z6kernelI26subtract_left_partial_tileLj256ELj32ELb0EJPdPiS1_jEEvDpT3_,"axG",@progbits,_Z6kernelI26subtract_left_partial_tileLj256ELj32ELb0EJPdPiS1_jEEvDpT3_,comdat
.Lfunc_end149:
	.size	_Z6kernelI26subtract_left_partial_tileLj256ELj32ELb0EJPdPiS1_jEEvDpT3_, .Lfunc_end149-_Z6kernelI26subtract_left_partial_tileLj256ELj32ELb0EJPdPiS1_jEEvDpT3_
                                        ; -- End function
	.section	.AMDGPU.csdata,"",@progbits
; Kernel info:
; codeLenInByte = 3040
; NumSgprs: 18
; NumVgprs: 163
; ScratchSize: 0
; MemoryBound: 0
; FloatMode: 240
; IeeeMode: 1
; LDSByteSize: 4096 bytes/workgroup (compile time only)
; SGPRBlocks: 2
; VGPRBlocks: 20
; NumSGPRsForWavesPerEU: 18
; NumVGPRsForWavesPerEU: 163
; Occupancy: 9
; WaveLimiterHint : 1
; COMPUTE_PGM_RSRC2:SCRATCH_EN: 0
; COMPUTE_PGM_RSRC2:USER_SGPR: 15
; COMPUTE_PGM_RSRC2:TRAP_HANDLER: 0
; COMPUTE_PGM_RSRC2:TGID_X_EN: 1
; COMPUTE_PGM_RSRC2:TGID_Y_EN: 0
; COMPUTE_PGM_RSRC2:TGID_Z_EN: 0
; COMPUTE_PGM_RSRC2:TIDIG_COMP_CNT: 0
	.section	.text._Z6kernelI26subtract_left_partial_tileLj256ELj1ELb1EJPiS1_S1_jEEvDpT3_,"axG",@progbits,_Z6kernelI26subtract_left_partial_tileLj256ELj1ELb1EJPiS1_S1_jEEvDpT3_,comdat
	.protected	_Z6kernelI26subtract_left_partial_tileLj256ELj1ELb1EJPiS1_S1_jEEvDpT3_ ; -- Begin function _Z6kernelI26subtract_left_partial_tileLj256ELj1ELb1EJPiS1_S1_jEEvDpT3_
	.globl	_Z6kernelI26subtract_left_partial_tileLj256ELj1ELb1EJPiS1_S1_jEEvDpT3_
	.p2align	8
	.type	_Z6kernelI26subtract_left_partial_tileLj256ELj1ELb1EJPiS1_S1_jEEvDpT3_,@function
_Z6kernelI26subtract_left_partial_tileLj256ELj1ELb1EJPiS1_S1_jEEvDpT3_: ; @_Z6kernelI26subtract_left_partial_tileLj256ELj1ELb1EJPiS1_S1_jEEvDpT3_
; %bb.0:
	s_clause 0x1
	s_load_b128 s[8:11], s[0:1], 0x0
	s_load_b64 s[4:5], s[0:1], 0x10
	s_lshl_b32 s12, s15, 8
	s_mov_b32 s13, 0
	v_lshlrev_b32_e32 v2, 2, v0
	s_lshl_b64 s[2:3], s[12:13], 2
	s_mov_b32 s6, s15
	s_mov_b32 s7, s13
	v_cmp_ne_u32_e32 vcc_lo, 0, v0
	s_waitcnt lgkmcnt(0)
	s_add_u32 s8, s8, s2
	s_addc_u32 s9, s9, s3
	global_load_b32 v1, v2, s[8:9]
	s_load_b32 s8, s[0:1], 0x18
	s_lshl_b64 s[0:1], s[6:7], 2
	s_delay_alu instid0(SALU_CYCLE_1)
	s_add_u32 s0, s10, s0
	s_addc_u32 s1, s11, s1
	s_load_b32 s1, s[0:1], 0x0
	s_waitcnt lgkmcnt(0)
	v_cvt_f32_u32_e32 v3, s8
	s_sub_i32 s7, 0, s8
	s_delay_alu instid0(VALU_DEP_1) | instskip(SKIP_2) | instid1(VALU_DEP_1)
	v_rcp_iflag_f32_e32 v3, v3
	s_waitcnt_depctr 0xfff
	v_mul_f32_e32 v3, 0x4f7ffffe, v3
	v_cvt_u32_f32_e32 v3, v3
	s_delay_alu instid0(VALU_DEP_1) | instskip(SKIP_1) | instid1(VALU_DEP_2)
	v_readfirstlane_b32 s6, v3
	v_add_nc_u32_e32 v3, -4, v2
	s_mul_i32 s7, s7, s6
	s_delay_alu instid0(SALU_CYCLE_1) | instskip(NEXT) | instid1(SALU_CYCLE_1)
	s_mul_hi_u32 s7, s6, s7
	s_add_i32 s6, s6, s7
	s_delay_alu instid0(SALU_CYCLE_1) | instskip(NEXT) | instid1(SALU_CYCLE_1)
	s_lshr_b32 s6, s6, 24
	s_mul_i32 s0, s6, s8
	s_add_i32 s7, s6, 1
	s_sub_i32 s0, 0x100, s0
	s_delay_alu instid0(SALU_CYCLE_1)
	s_sub_i32 s9, s0, s8
	s_cmp_ge_u32 s0, s8
	s_cselect_b32 s6, s7, s6
	s_cselect_b32 s0, s9, s0
	s_add_i32 s7, s6, 1
	s_cmp_ge_u32 s0, s8
	s_cselect_b32 s6, s7, s6
	s_max_u32 s7, s8, 1
	s_add_i32 s6, s6, 1
	s_branch .LBB150_2
	.p2align	6
.LBB150_1:                              ;   in Loop: Header=BB150_2 Depth=1
	s_or_b32 exec_lo, exec_lo, s0
	v_cmp_gt_u32_e64 s0, s1, v0
	v_lshlrev_b32_e32 v1, 1, v1
	s_add_i32 s7, s7, -1
	s_waitcnt lgkmcnt(0)
	s_barrier
	v_cndmask_b32_e64 v4, 0, v4, s0
	s_add_i32 s0, s6, s1
	buffer_gl0_inv
	s_and_b32 s1, s0, 0xff
	s_cmp_lg_u32 s7, 0
	v_sub_nc_u32_e32 v1, v1, v4
	s_cbranch_scc0 .LBB150_4
.LBB150_2:                              ; =>This Inner Loop Header: Depth=1
	v_mov_b32_e32 v4, 0x7b
	s_waitcnt vmcnt(0)
	ds_store_b32 v2, v1
	s_waitcnt lgkmcnt(0)
	s_barrier
	buffer_gl0_inv
	s_and_saveexec_b32 s0, vcc_lo
	s_cbranch_execz .LBB150_1
; %bb.3:                                ;   in Loop: Header=BB150_2 Depth=1
	ds_load_b32 v4, v3
	s_branch .LBB150_1
.LBB150_4:
	v_lshlrev_b32_e32 v0, 2, v0
	s_add_u32 s0, s4, s2
	s_addc_u32 s1, s5, s3
	global_store_b32 v0, v1, s[0:1]
	s_nop 0
	s_sendmsg sendmsg(MSG_DEALLOC_VGPRS)
	s_endpgm
	.section	.rodata,"a",@progbits
	.p2align	6, 0x0
	.amdhsa_kernel _Z6kernelI26subtract_left_partial_tileLj256ELj1ELb1EJPiS1_S1_jEEvDpT3_
		.amdhsa_group_segment_fixed_size 2048
		.amdhsa_private_segment_fixed_size 0
		.amdhsa_kernarg_size 28
		.amdhsa_user_sgpr_count 15
		.amdhsa_user_sgpr_dispatch_ptr 0
		.amdhsa_user_sgpr_queue_ptr 0
		.amdhsa_user_sgpr_kernarg_segment_ptr 1
		.amdhsa_user_sgpr_dispatch_id 0
		.amdhsa_user_sgpr_private_segment_size 0
		.amdhsa_wavefront_size32 1
		.amdhsa_uses_dynamic_stack 0
		.amdhsa_enable_private_segment 0
		.amdhsa_system_sgpr_workgroup_id_x 1
		.amdhsa_system_sgpr_workgroup_id_y 0
		.amdhsa_system_sgpr_workgroup_id_z 0
		.amdhsa_system_sgpr_workgroup_info 0
		.amdhsa_system_vgpr_workitem_id 0
		.amdhsa_next_free_vgpr 5
		.amdhsa_next_free_sgpr 16
		.amdhsa_reserve_vcc 1
		.amdhsa_float_round_mode_32 0
		.amdhsa_float_round_mode_16_64 0
		.amdhsa_float_denorm_mode_32 3
		.amdhsa_float_denorm_mode_16_64 3
		.amdhsa_dx10_clamp 1
		.amdhsa_ieee_mode 1
		.amdhsa_fp16_overflow 0
		.amdhsa_workgroup_processor_mode 1
		.amdhsa_memory_ordered 1
		.amdhsa_forward_progress 0
		.amdhsa_shared_vgpr_count 0
		.amdhsa_exception_fp_ieee_invalid_op 0
		.amdhsa_exception_fp_denorm_src 0
		.amdhsa_exception_fp_ieee_div_zero 0
		.amdhsa_exception_fp_ieee_overflow 0
		.amdhsa_exception_fp_ieee_underflow 0
		.amdhsa_exception_fp_ieee_inexact 0
		.amdhsa_exception_int_div_zero 0
	.end_amdhsa_kernel
	.section	.text._Z6kernelI26subtract_left_partial_tileLj256ELj1ELb1EJPiS1_S1_jEEvDpT3_,"axG",@progbits,_Z6kernelI26subtract_left_partial_tileLj256ELj1ELb1EJPiS1_S1_jEEvDpT3_,comdat
.Lfunc_end150:
	.size	_Z6kernelI26subtract_left_partial_tileLj256ELj1ELb1EJPiS1_S1_jEEvDpT3_, .Lfunc_end150-_Z6kernelI26subtract_left_partial_tileLj256ELj1ELb1EJPiS1_S1_jEEvDpT3_
                                        ; -- End function
	.section	.AMDGPU.csdata,"",@progbits
; Kernel info:
; codeLenInByte = 388
; NumSgprs: 18
; NumVgprs: 5
; ScratchSize: 0
; MemoryBound: 0
; FloatMode: 240
; IeeeMode: 1
; LDSByteSize: 2048 bytes/workgroup (compile time only)
; SGPRBlocks: 2
; VGPRBlocks: 0
; NumSGPRsForWavesPerEU: 18
; NumVGPRsForWavesPerEU: 5
; Occupancy: 16
; WaveLimiterHint : 0
; COMPUTE_PGM_RSRC2:SCRATCH_EN: 0
; COMPUTE_PGM_RSRC2:USER_SGPR: 15
; COMPUTE_PGM_RSRC2:TRAP_HANDLER: 0
; COMPUTE_PGM_RSRC2:TGID_X_EN: 1
; COMPUTE_PGM_RSRC2:TGID_Y_EN: 0
; COMPUTE_PGM_RSRC2:TGID_Z_EN: 0
; COMPUTE_PGM_RSRC2:TIDIG_COMP_CNT: 0
	.section	.text._Z6kernelI26subtract_left_partial_tileLj256ELj3ELb1EJPiS1_S1_jEEvDpT3_,"axG",@progbits,_Z6kernelI26subtract_left_partial_tileLj256ELj3ELb1EJPiS1_S1_jEEvDpT3_,comdat
	.protected	_Z6kernelI26subtract_left_partial_tileLj256ELj3ELb1EJPiS1_S1_jEEvDpT3_ ; -- Begin function _Z6kernelI26subtract_left_partial_tileLj256ELj3ELb1EJPiS1_S1_jEEvDpT3_
	.globl	_Z6kernelI26subtract_left_partial_tileLj256ELj3ELb1EJPiS1_S1_jEEvDpT3_
	.p2align	8
	.type	_Z6kernelI26subtract_left_partial_tileLj256ELj3ELb1EJPiS1_S1_jEEvDpT3_,@function
_Z6kernelI26subtract_left_partial_tileLj256ELj3ELb1EJPiS1_S1_jEEvDpT3_: ; @_Z6kernelI26subtract_left_partial_tileLj256ELj3ELb1EJPiS1_S1_jEEvDpT3_
; %bb.0:
	s_clause 0x1
	s_load_b128 s[8:11], s[0:1], 0x0
	s_load_b64 s[4:5], s[0:1], 0x10
	s_mov_b32 s13, 0
	s_mul_i32 s12, s15, 0x300
	v_lshlrev_b32_e32 v4, 2, v0
	s_lshl_b64 s[2:3], s[12:13], 2
	s_mov_b32 s6, s15
	s_mov_b32 s7, s13
	v_mad_u32_u24 v6, v0, 3, 2
	v_mad_u32_u24 v7, v0, 3, 1
	v_cmp_ne_u32_e32 vcc_lo, 0, v0
	s_waitcnt lgkmcnt(0)
	s_add_u32 s8, s8, s2
	s_addc_u32 s9, s9, s3
	s_clause 0x2
	global_load_b32 v1, v4, s[8:9]
	global_load_b32 v2, v4, s[8:9] offset:1024
	global_load_b32 v3, v4, s[8:9] offset:2048
	s_load_b32 s8, s[0:1], 0x18
	s_lshl_b64 s[0:1], s[6:7], 2
	s_delay_alu instid0(SALU_CYCLE_1)
	s_add_u32 s0, s10, s0
	s_addc_u32 s1, s11, s1
	s_load_b32 s1, s[0:1], 0x0
	s_waitcnt lgkmcnt(0)
	v_cvt_f32_u32_e32 v5, s8
	s_sub_i32 s7, 0, s8
	s_delay_alu instid0(VALU_DEP_1) | instskip(SKIP_2) | instid1(VALU_DEP_1)
	v_rcp_iflag_f32_e32 v5, v5
	s_waitcnt_depctr 0xfff
	v_dual_mul_f32 v5, 0x4f7ffffe, v5 :: v_dual_add_nc_u32 v8, -4, v4
	v_cvt_u32_f32_e32 v5, v5
	s_delay_alu instid0(VALU_DEP_1) | instskip(SKIP_1) | instid1(VALU_DEP_2)
	v_readfirstlane_b32 s6, v5
	v_mul_u32_u24_e32 v5, 3, v0
	s_mul_i32 s7, s7, s6
	s_delay_alu instid0(SALU_CYCLE_1) | instskip(NEXT) | instid1(SALU_CYCLE_1)
	s_mul_hi_u32 s7, s6, s7
	s_add_i32 s6, s6, s7
	s_delay_alu instid0(SALU_CYCLE_1) | instskip(NEXT) | instid1(SALU_CYCLE_1)
	s_mul_hi_u32 s6, s6, 0x300
	s_mul_i32 s7, s6, s8
	s_delay_alu instid0(SALU_CYCLE_1)
	s_sub_i32 s0, 0x300, s7
	s_add_i32 s7, s6, 1
	s_sub_i32 s9, s0, s8
	s_cmp_ge_u32 s0, s8
	s_cselect_b32 s6, s7, s6
	s_cselect_b32 s0, s9, s0
	s_add_i32 s7, s6, 1
	s_cmp_ge_u32 s0, s8
	s_cselect_b32 s6, s7, s6
	s_max_u32 s7, s8, 1
	s_add_i32 s6, s6, 1
	s_set_inst_prefetch_distance 0x1
	s_branch .LBB151_2
	.p2align	6
.LBB151_1:                              ;   in Loop: Header=BB151_2 Depth=1
	s_or_b32 exec_lo, exec_lo, s0
	v_cmp_gt_u32_e64 s0, s1, v5
	v_sub_nc_u32_e32 v10, v2, v1
	v_sub_nc_u32_e32 v11, v3, v2
	s_add_i32 s8, s6, s1
	s_add_i32 s7, s7, -1
	s_waitcnt lgkmcnt(0)
	v_cndmask_b32_e64 v9, 0, v9, s0
	v_cmp_gt_u32_e64 s0, s1, v7
	s_barrier
	buffer_gl0_inv
	v_sub_nc_u32_e32 v9, v1, v9
	v_cndmask_b32_e64 v10, v2, v10, s0
	v_cmp_gt_u32_e64 s0, s1, v6
	s_delay_alu instid0(VALU_DEP_3) | instskip(NEXT) | instid1(VALU_DEP_3)
	v_add_nc_u32_e32 v1, v9, v1
	v_add_nc_u32_e32 v2, v10, v2
	s_delay_alu instid0(VALU_DEP_3) | instskip(SKIP_1) | instid1(SALU_CYCLE_1)
	v_cndmask_b32_e64 v11, v3, v11, s0
	s_mul_hi_u32 s0, s8, 0xaaaaaaab
	s_lshr_b32 s0, s0, 9
	s_delay_alu instid0(SALU_CYCLE_1) | instskip(NEXT) | instid1(VALU_DEP_1)
	s_mulk_i32 s0, 0x300
	v_add_nc_u32_e32 v3, v11, v3
	s_sub_i32 s1, s8, s0
	s_cmp_lg_u32 s7, 0
	s_cbranch_scc0 .LBB151_4
.LBB151_2:                              ; =>This Inner Loop Header: Depth=1
	v_mov_b32_e32 v9, 0x7b
	s_waitcnt vmcnt(0)
	ds_store_b32 v4, v3
	s_waitcnt lgkmcnt(0)
	s_barrier
	buffer_gl0_inv
	s_and_saveexec_b32 s0, vcc_lo
	s_cbranch_execz .LBB151_1
; %bb.3:                                ;   in Loop: Header=BB151_2 Depth=1
	ds_load_b32 v9, v8
	s_branch .LBB151_1
.LBB151_4:
	s_set_inst_prefetch_distance 0x2
	v_lshlrev_b32_e32 v0, 2, v0
	s_add_u32 s0, s4, s2
	s_addc_u32 s1, s5, s3
	s_clause 0x2
	global_store_b32 v0, v1, s[0:1]
	global_store_b32 v0, v2, s[0:1] offset:1024
	global_store_b32 v0, v3, s[0:1] offset:2048
	s_nop 0
	s_sendmsg sendmsg(MSG_DEALLOC_VGPRS)
	s_endpgm
	.section	.rodata,"a",@progbits
	.p2align	6, 0x0
	.amdhsa_kernel _Z6kernelI26subtract_left_partial_tileLj256ELj3ELb1EJPiS1_S1_jEEvDpT3_
		.amdhsa_group_segment_fixed_size 2048
		.amdhsa_private_segment_fixed_size 0
		.amdhsa_kernarg_size 28
		.amdhsa_user_sgpr_count 15
		.amdhsa_user_sgpr_dispatch_ptr 0
		.amdhsa_user_sgpr_queue_ptr 0
		.amdhsa_user_sgpr_kernarg_segment_ptr 1
		.amdhsa_user_sgpr_dispatch_id 0
		.amdhsa_user_sgpr_private_segment_size 0
		.amdhsa_wavefront_size32 1
		.amdhsa_uses_dynamic_stack 0
		.amdhsa_enable_private_segment 0
		.amdhsa_system_sgpr_workgroup_id_x 1
		.amdhsa_system_sgpr_workgroup_id_y 0
		.amdhsa_system_sgpr_workgroup_id_z 0
		.amdhsa_system_sgpr_workgroup_info 0
		.amdhsa_system_vgpr_workitem_id 0
		.amdhsa_next_free_vgpr 12
		.amdhsa_next_free_sgpr 16
		.amdhsa_reserve_vcc 1
		.amdhsa_float_round_mode_32 0
		.amdhsa_float_round_mode_16_64 0
		.amdhsa_float_denorm_mode_32 3
		.amdhsa_float_denorm_mode_16_64 3
		.amdhsa_dx10_clamp 1
		.amdhsa_ieee_mode 1
		.amdhsa_fp16_overflow 0
		.amdhsa_workgroup_processor_mode 1
		.amdhsa_memory_ordered 1
		.amdhsa_forward_progress 0
		.amdhsa_shared_vgpr_count 0
		.amdhsa_exception_fp_ieee_invalid_op 0
		.amdhsa_exception_fp_denorm_src 0
		.amdhsa_exception_fp_ieee_div_zero 0
		.amdhsa_exception_fp_ieee_overflow 0
		.amdhsa_exception_fp_ieee_underflow 0
		.amdhsa_exception_fp_ieee_inexact 0
		.amdhsa_exception_int_div_zero 0
	.end_amdhsa_kernel
	.section	.text._Z6kernelI26subtract_left_partial_tileLj256ELj3ELb1EJPiS1_S1_jEEvDpT3_,"axG",@progbits,_Z6kernelI26subtract_left_partial_tileLj256ELj3ELb1EJPiS1_S1_jEEvDpT3_,comdat
.Lfunc_end151:
	.size	_Z6kernelI26subtract_left_partial_tileLj256ELj3ELb1EJPiS1_S1_jEEvDpT3_, .Lfunc_end151-_Z6kernelI26subtract_left_partial_tileLj256ELj3ELb1EJPiS1_S1_jEEvDpT3_
                                        ; -- End function
	.section	.AMDGPU.csdata,"",@progbits
; Kernel info:
; codeLenInByte = 536
; NumSgprs: 18
; NumVgprs: 12
; ScratchSize: 0
; MemoryBound: 0
; FloatMode: 240
; IeeeMode: 1
; LDSByteSize: 2048 bytes/workgroup (compile time only)
; SGPRBlocks: 2
; VGPRBlocks: 1
; NumSGPRsForWavesPerEU: 18
; NumVGPRsForWavesPerEU: 12
; Occupancy: 16
; WaveLimiterHint : 1
; COMPUTE_PGM_RSRC2:SCRATCH_EN: 0
; COMPUTE_PGM_RSRC2:USER_SGPR: 15
; COMPUTE_PGM_RSRC2:TRAP_HANDLER: 0
; COMPUTE_PGM_RSRC2:TGID_X_EN: 1
; COMPUTE_PGM_RSRC2:TGID_Y_EN: 0
; COMPUTE_PGM_RSRC2:TGID_Z_EN: 0
; COMPUTE_PGM_RSRC2:TIDIG_COMP_CNT: 0
	.section	.text._Z6kernelI26subtract_left_partial_tileLj256ELj4ELb1EJPiS1_S1_jEEvDpT3_,"axG",@progbits,_Z6kernelI26subtract_left_partial_tileLj256ELj4ELb1EJPiS1_S1_jEEvDpT3_,comdat
	.protected	_Z6kernelI26subtract_left_partial_tileLj256ELj4ELb1EJPiS1_S1_jEEvDpT3_ ; -- Begin function _Z6kernelI26subtract_left_partial_tileLj256ELj4ELb1EJPiS1_S1_jEEvDpT3_
	.globl	_Z6kernelI26subtract_left_partial_tileLj256ELj4ELb1EJPiS1_S1_jEEvDpT3_
	.p2align	8
	.type	_Z6kernelI26subtract_left_partial_tileLj256ELj4ELb1EJPiS1_S1_jEEvDpT3_,@function
_Z6kernelI26subtract_left_partial_tileLj256ELj4ELb1EJPiS1_S1_jEEvDpT3_: ; @_Z6kernelI26subtract_left_partial_tileLj256ELj4ELb1EJPiS1_S1_jEEvDpT3_
; %bb.0:
	s_clause 0x1
	s_load_b128 s[8:11], s[0:1], 0x0
	s_load_b64 s[4:5], s[0:1], 0x10
	s_mov_b32 s13, 0
	s_lshl_b32 s12, s15, 10
	v_lshlrev_b32_e32 v5, 2, v0
	s_lshl_b64 s[2:3], s[12:13], 2
	s_mov_b32 s6, s15
	s_mov_b32 s7, s13
	v_cmp_ne_u32_e32 vcc_lo, 0, v0
	s_waitcnt lgkmcnt(0)
	s_add_u32 s8, s8, s2
	s_addc_u32 s9, s9, s3
	s_clause 0x3
	global_load_b32 v1, v5, s[8:9]
	global_load_b32 v2, v5, s[8:9] offset:1024
	global_load_b32 v3, v5, s[8:9] offset:2048
	;; [unrolled: 1-line block ×3, first 2 shown]
	s_load_b32 s8, s[0:1], 0x18
	s_lshl_b64 s[0:1], s[6:7], 2
	s_delay_alu instid0(SALU_CYCLE_1)
	s_add_u32 s0, s10, s0
	s_addc_u32 s1, s11, s1
	s_load_b32 s1, s[0:1], 0x0
	s_waitcnt lgkmcnt(0)
	v_cvt_f32_u32_e32 v6, s8
	s_sub_i32 s7, 0, s8
	s_delay_alu instid0(VALU_DEP_1)
	v_rcp_iflag_f32_e32 v6, v6
	s_waitcnt_depctr 0xfff
	v_mul_f32_e32 v6, 0x4f7ffffe, v6
	v_or_b32_e32 v7, 2, v5
	v_or_b32_e32 v8, 1, v5
	v_add_nc_u32_e32 v9, -4, v5
	s_delay_alu instid0(VALU_DEP_4) | instskip(NEXT) | instid1(VALU_DEP_1)
	v_cvt_u32_f32_e32 v6, v6
	v_readfirstlane_b32 s6, v6
	v_or_b32_e32 v6, 3, v5
	s_delay_alu instid0(VALU_DEP_2) | instskip(NEXT) | instid1(SALU_CYCLE_1)
	s_mul_i32 s7, s7, s6
	s_mul_hi_u32 s7, s6, s7
	s_delay_alu instid0(SALU_CYCLE_1) | instskip(NEXT) | instid1(SALU_CYCLE_1)
	s_add_i32 s6, s6, s7
	s_lshr_b32 s6, s6, 22
	s_delay_alu instid0(SALU_CYCLE_1) | instskip(NEXT) | instid1(SALU_CYCLE_1)
	s_mul_i32 s7, s6, s8
	s_sub_i32 s0, 0x400, s7
	s_add_i32 s7, s6, 1
	s_sub_i32 s9, s0, s8
	s_cmp_ge_u32 s0, s8
	s_cselect_b32 s6, s7, s6
	s_cselect_b32 s0, s9, s0
	s_add_i32 s7, s6, 1
	s_cmp_ge_u32 s0, s8
	s_cselect_b32 s6, s7, s6
	s_max_u32 s7, s8, 1
	s_add_i32 s6, s6, 1
	s_set_inst_prefetch_distance 0x1
	s_branch .LBB152_2
	.p2align	6
.LBB152_1:                              ;   in Loop: Header=BB152_2 Depth=1
	s_or_b32 exec_lo, exec_lo, s0
	v_cmp_gt_u32_e64 s0, s1, v5
	v_sub_nc_u32_e32 v11, v2, v1
	v_sub_nc_u32_e32 v13, v3, v2
	;; [unrolled: 1-line block ×3, first 2 shown]
	s_add_i32 s7, s7, -1
	s_waitcnt lgkmcnt(0)
	v_cndmask_b32_e64 v10, 0, v10, s0
	v_cmp_gt_u32_e64 s0, s1, v8
	s_barrier
	buffer_gl0_inv
	v_sub_nc_u32_e32 v10, v1, v10
	v_cndmask_b32_e64 v11, v2, v11, s0
	v_cmp_gt_u32_e64 s0, s1, v7
	s_delay_alu instid0(VALU_DEP_3) | instskip(NEXT) | instid1(VALU_DEP_3)
	v_add_nc_u32_e32 v1, v10, v1
	v_add_nc_u32_e32 v2, v11, v2
	s_delay_alu instid0(VALU_DEP_3) | instskip(SKIP_1) | instid1(VALU_DEP_2)
	v_cndmask_b32_e64 v13, v3, v13, s0
	v_cmp_gt_u32_e64 s0, s1, v6
	v_add_nc_u32_e32 v3, v13, v3
	s_delay_alu instid0(VALU_DEP_2) | instskip(SKIP_1) | instid1(SALU_CYCLE_1)
	v_cndmask_b32_e64 v12, v4, v12, s0
	s_add_i32 s0, s6, s1
	s_and_b32 s1, s0, 0x3ff
	s_cmp_lg_u32 s7, 0
	s_delay_alu instid0(VALU_DEP_1)
	v_add_nc_u32_e32 v4, v12, v4
	s_cbranch_scc0 .LBB152_4
.LBB152_2:                              ; =>This Inner Loop Header: Depth=1
	v_mov_b32_e32 v10, 0x7b
	s_waitcnt vmcnt(0)
	ds_store_b32 v5, v4
	s_waitcnt lgkmcnt(0)
	s_barrier
	buffer_gl0_inv
	s_and_saveexec_b32 s0, vcc_lo
	s_cbranch_execz .LBB152_1
; %bb.3:                                ;   in Loop: Header=BB152_2 Depth=1
	ds_load_b32 v10, v9
	s_branch .LBB152_1
.LBB152_4:
	s_set_inst_prefetch_distance 0x2
	v_lshlrev_b32_e32 v0, 2, v0
	s_add_u32 s0, s4, s2
	s_addc_u32 s1, s5, s3
	s_clause 0x3
	global_store_b32 v0, v1, s[0:1]
	global_store_b32 v0, v2, s[0:1] offset:1024
	global_store_b32 v0, v3, s[0:1] offset:2048
	;; [unrolled: 1-line block ×3, first 2 shown]
	s_nop 0
	s_sendmsg sendmsg(MSG_DEALLOC_VGPRS)
	s_endpgm
	.section	.rodata,"a",@progbits
	.p2align	6, 0x0
	.amdhsa_kernel _Z6kernelI26subtract_left_partial_tileLj256ELj4ELb1EJPiS1_S1_jEEvDpT3_
		.amdhsa_group_segment_fixed_size 2048
		.amdhsa_private_segment_fixed_size 0
		.amdhsa_kernarg_size 28
		.amdhsa_user_sgpr_count 15
		.amdhsa_user_sgpr_dispatch_ptr 0
		.amdhsa_user_sgpr_queue_ptr 0
		.amdhsa_user_sgpr_kernarg_segment_ptr 1
		.amdhsa_user_sgpr_dispatch_id 0
		.amdhsa_user_sgpr_private_segment_size 0
		.amdhsa_wavefront_size32 1
		.amdhsa_uses_dynamic_stack 0
		.amdhsa_enable_private_segment 0
		.amdhsa_system_sgpr_workgroup_id_x 1
		.amdhsa_system_sgpr_workgroup_id_y 0
		.amdhsa_system_sgpr_workgroup_id_z 0
		.amdhsa_system_sgpr_workgroup_info 0
		.amdhsa_system_vgpr_workitem_id 0
		.amdhsa_next_free_vgpr 14
		.amdhsa_next_free_sgpr 16
		.amdhsa_reserve_vcc 1
		.amdhsa_float_round_mode_32 0
		.amdhsa_float_round_mode_16_64 0
		.amdhsa_float_denorm_mode_32 3
		.amdhsa_float_denorm_mode_16_64 3
		.amdhsa_dx10_clamp 1
		.amdhsa_ieee_mode 1
		.amdhsa_fp16_overflow 0
		.amdhsa_workgroup_processor_mode 1
		.amdhsa_memory_ordered 1
		.amdhsa_forward_progress 0
		.amdhsa_shared_vgpr_count 0
		.amdhsa_exception_fp_ieee_invalid_op 0
		.amdhsa_exception_fp_denorm_src 0
		.amdhsa_exception_fp_ieee_div_zero 0
		.amdhsa_exception_fp_ieee_overflow 0
		.amdhsa_exception_fp_ieee_underflow 0
		.amdhsa_exception_fp_ieee_inexact 0
		.amdhsa_exception_int_div_zero 0
	.end_amdhsa_kernel
	.section	.text._Z6kernelI26subtract_left_partial_tileLj256ELj4ELb1EJPiS1_S1_jEEvDpT3_,"axG",@progbits,_Z6kernelI26subtract_left_partial_tileLj256ELj4ELb1EJPiS1_S1_jEEvDpT3_,comdat
.Lfunc_end152:
	.size	_Z6kernelI26subtract_left_partial_tileLj256ELj4ELb1EJPiS1_S1_jEEvDpT3_, .Lfunc_end152-_Z6kernelI26subtract_left_partial_tileLj256ELj4ELb1EJPiS1_S1_jEEvDpT3_
                                        ; -- End function
	.section	.AMDGPU.csdata,"",@progbits
; Kernel info:
; codeLenInByte = 552
; NumSgprs: 18
; NumVgprs: 14
; ScratchSize: 0
; MemoryBound: 0
; FloatMode: 240
; IeeeMode: 1
; LDSByteSize: 2048 bytes/workgroup (compile time only)
; SGPRBlocks: 2
; VGPRBlocks: 1
; NumSGPRsForWavesPerEU: 18
; NumVGPRsForWavesPerEU: 14
; Occupancy: 16
; WaveLimiterHint : 1
; COMPUTE_PGM_RSRC2:SCRATCH_EN: 0
; COMPUTE_PGM_RSRC2:USER_SGPR: 15
; COMPUTE_PGM_RSRC2:TRAP_HANDLER: 0
; COMPUTE_PGM_RSRC2:TGID_X_EN: 1
; COMPUTE_PGM_RSRC2:TGID_Y_EN: 0
; COMPUTE_PGM_RSRC2:TGID_Z_EN: 0
; COMPUTE_PGM_RSRC2:TIDIG_COMP_CNT: 0
	.section	.text._Z6kernelI26subtract_left_partial_tileLj256ELj8ELb1EJPiS1_S1_jEEvDpT3_,"axG",@progbits,_Z6kernelI26subtract_left_partial_tileLj256ELj8ELb1EJPiS1_S1_jEEvDpT3_,comdat
	.protected	_Z6kernelI26subtract_left_partial_tileLj256ELj8ELb1EJPiS1_S1_jEEvDpT3_ ; -- Begin function _Z6kernelI26subtract_left_partial_tileLj256ELj8ELb1EJPiS1_S1_jEEvDpT3_
	.globl	_Z6kernelI26subtract_left_partial_tileLj256ELj8ELb1EJPiS1_S1_jEEvDpT3_
	.p2align	8
	.type	_Z6kernelI26subtract_left_partial_tileLj256ELj8ELb1EJPiS1_S1_jEEvDpT3_,@function
_Z6kernelI26subtract_left_partial_tileLj256ELj8ELb1EJPiS1_S1_jEEvDpT3_: ; @_Z6kernelI26subtract_left_partial_tileLj256ELj8ELb1EJPiS1_S1_jEEvDpT3_
; %bb.0:
	s_clause 0x1
	s_load_b128 s[4:7], s[0:1], 0x0
	s_load_b64 s[8:9], s[0:1], 0x10
	s_mov_b32 s13, 0
	s_lshl_b32 s12, s15, 11
	v_lshlrev_b32_e32 v9, 2, v0
	s_lshl_b64 s[2:3], s[12:13], 2
	s_mov_b32 s10, s15
	s_waitcnt lgkmcnt(0)
	s_add_u32 s4, s4, s2
	s_addc_u32 s5, s5, s3
	v_add_co_u32 v1, s11, s4, v9
	s_delay_alu instid0(VALU_DEP_1) | instskip(SKIP_1) | instid1(VALU_DEP_2)
	v_add_co_ci_u32_e64 v2, null, s5, 0, s11
	s_mov_b32 s11, s13
	v_add_co_u32 v10, vcc_lo, 0x1000, v1
	s_delay_alu instid0(VALU_DEP_2)
	v_add_co_ci_u32_e32 v11, vcc_lo, 0, v2, vcc_lo
	s_clause 0x7
	global_load_b32 v1, v9, s[4:5]
	global_load_b32 v2, v9, s[4:5] offset:1024
	global_load_b32 v3, v9, s[4:5] offset:2048
	;; [unrolled: 1-line block ×3, first 2 shown]
	global_load_b32 v5, v[10:11], off
	global_load_b32 v6, v[10:11], off offset:1024
	global_load_b32 v7, v[10:11], off offset:2048
	;; [unrolled: 1-line block ×3, first 2 shown]
	s_load_b32 s5, s[0:1], 0x18
	s_lshl_b64 s[0:1], s[10:11], 2
	v_cmp_ne_u32_e32 vcc_lo, 0, v0
	s_add_u32 s0, s6, s0
	s_addc_u32 s1, s7, s1
	s_load_b32 s1, s[0:1], 0x0
	s_waitcnt lgkmcnt(0)
	v_cvt_f32_u32_e32 v10, s5
	s_sub_i32 s6, 0, s5
	s_delay_alu instid0(VALU_DEP_1) | instskip(SKIP_3) | instid1(VALU_DEP_2)
	v_rcp_iflag_f32_e32 v10, v10
	s_waitcnt_depctr 0xfff
	v_mul_f32_e32 v10, 0x4f7ffffe, v10
	v_add_nc_u32_e32 v18, -4, v9
	v_cvt_u32_f32_e32 v10, v10
	s_delay_alu instid0(VALU_DEP_1) | instskip(SKIP_1) | instid1(VALU_DEP_2)
	v_readfirstlane_b32 s4, v10
	v_lshlrev_b32_e32 v10, 3, v0
	s_mul_i32 s6, s6, s4
	s_delay_alu instid0(VALU_DEP_1)
	v_or_b32_e32 v11, 7, v10
	s_mul_hi_u32 s6, s4, s6
	v_or_b32_e32 v12, 6, v10
	s_add_i32 s4, s4, s6
	v_or_b32_e32 v13, 5, v10
	s_lshr_b32 s4, s4, 21
	v_or_b32_e32 v14, 4, v10
	s_mul_i32 s6, s4, s5
	s_add_i32 s7, s4, 1
	s_sub_i32 s6, 0x800, s6
	v_or_b32_e32 v15, 3, v10
	s_sub_i32 s10, s6, s5
	s_cmp_ge_u32 s6, s5
	v_or_b32_e32 v16, 2, v10
	s_cselect_b32 s0, s7, s4
	s_cselect_b32 s4, s10, s6
	s_add_i32 s6, s0, 1
	s_cmp_ge_u32 s4, s5
	v_or_b32_e32 v17, 1, v10
	s_cselect_b32 s4, s6, s0
	s_max_u32 s5, s5, 1
	s_add_i32 s4, s4, 1
	s_branch .LBB153_2
.LBB153_1:                              ;   in Loop: Header=BB153_2 Depth=1
	s_or_b32 exec_lo, exec_lo, s0
	v_cmp_gt_u32_e64 s0, s1, v11
	s_add_i32 s5, s5, -1
	s_waitcnt lgkmcnt(0)
	s_barrier
	buffer_gl0_inv
	v_cndmask_b32_e64 v20, 0, v7, s0
	v_cmp_gt_u32_e64 s0, s1, v12
	s_delay_alu instid0(VALU_DEP_2) | instskip(NEXT) | instid1(VALU_DEP_2)
	v_sub_nc_u32_e32 v20, v8, v20
	v_cndmask_b32_e64 v21, 0, v6, s0
	v_cmp_gt_u32_e64 s0, s1, v13
	s_delay_alu instid0(VALU_DEP_3) | instskip(NEXT) | instid1(VALU_DEP_3)
	v_add_nc_u32_e32 v8, v20, v8
	v_sub_nc_u32_e32 v21, v7, v21
	s_delay_alu instid0(VALU_DEP_3) | instskip(SKIP_1) | instid1(VALU_DEP_3)
	v_cndmask_b32_e64 v22, 0, v5, s0
	v_cmp_gt_u32_e64 s0, s1, v15
	v_add_nc_u32_e32 v7, v21, v7
	s_delay_alu instid0(VALU_DEP_3) | instskip(NEXT) | instid1(VALU_DEP_3)
	v_sub_nc_u32_e32 v22, v6, v22
	v_cndmask_b32_e64 v23, 0, v3, s0
	v_cmp_gt_u32_e64 s0, s1, v17
	s_delay_alu instid0(VALU_DEP_3) | instskip(NEXT) | instid1(VALU_DEP_3)
	v_add_nc_u32_e32 v6, v22, v6
	v_sub_nc_u32_e32 v23, v4, v23
	s_delay_alu instid0(VALU_DEP_3) | instskip(SKIP_1) | instid1(VALU_DEP_2)
	v_cndmask_b32_e64 v24, 0, v1, s0
	v_cmp_gt_u32_e64 s0, s1, v10
	v_sub_nc_u32_e32 v24, v2, v24
	s_delay_alu instid0(VALU_DEP_2) | instskip(SKIP_1) | instid1(VALU_DEP_2)
	v_cndmask_b32_e64 v19, 0, v19, s0
	v_cmp_gt_u32_e64 s0, s1, v16
	v_sub_nc_u32_e32 v19, v1, v19
	s_delay_alu instid0(VALU_DEP_2) | instskip(SKIP_2) | instid1(VALU_DEP_4)
	v_cndmask_b32_e64 v25, 0, v2, s0
	v_cmp_gt_u32_e64 s0, s1, v14
	v_add_nc_u32_e32 v2, v24, v2
	v_add_nc_u32_e32 v1, v19, v1
	s_delay_alu instid0(VALU_DEP_4) | instskip(NEXT) | instid1(VALU_DEP_4)
	v_sub_nc_u32_e32 v25, v3, v25
	v_cndmask_b32_e64 v26, 0, v4, s0
	v_add_nc_u32_e32 v4, v23, v4
	s_add_i32 s0, s4, s1
	s_delay_alu instid0(VALU_DEP_3) | instskip(NEXT) | instid1(VALU_DEP_3)
	v_add_nc_u32_e32 v3, v25, v3
	v_sub_nc_u32_e32 v26, v5, v26
	s_and_b32 s1, s0, 0x7ff
	s_cmp_lg_u32 s5, 0
	s_delay_alu instid0(VALU_DEP_1)
	v_add_nc_u32_e32 v5, v26, v5
	s_cbranch_scc0 .LBB153_4
.LBB153_2:                              ; =>This Inner Loop Header: Depth=1
	v_mov_b32_e32 v19, 0x7b
	s_waitcnt vmcnt(0)
	ds_store_b32 v9, v8
	s_waitcnt lgkmcnt(0)
	s_barrier
	buffer_gl0_inv
	s_and_saveexec_b32 s0, vcc_lo
	s_cbranch_execz .LBB153_1
; %bb.3:                                ;   in Loop: Header=BB153_2 Depth=1
	ds_load_b32 v19, v18
	s_branch .LBB153_1
.LBB153_4:
	v_lshlrev_b32_e32 v0, 2, v0
	s_add_u32 s0, s8, s2
	s_addc_u32 s1, s9, s3
	s_delay_alu instid0(VALU_DEP_1) | instskip(NEXT) | instid1(VALU_DEP_1)
	v_add_co_u32 v9, s2, s0, v0
	v_add_co_ci_u32_e64 v10, null, s1, 0, s2
	s_delay_alu instid0(VALU_DEP_2) | instskip(NEXT) | instid1(VALU_DEP_2)
	v_add_co_u32 v9, vcc_lo, 0x1000, v9
	v_add_co_ci_u32_e32 v10, vcc_lo, 0, v10, vcc_lo
	s_clause 0x7
	global_store_b32 v0, v1, s[0:1]
	global_store_b32 v0, v2, s[0:1] offset:1024
	global_store_b32 v0, v3, s[0:1] offset:2048
	;; [unrolled: 1-line block ×3, first 2 shown]
	global_store_b32 v[9:10], v5, off
	global_store_b32 v[9:10], v6, off offset:1024
	global_store_b32 v[9:10], v7, off offset:2048
	;; [unrolled: 1-line block ×3, first 2 shown]
	s_nop 0
	s_sendmsg sendmsg(MSG_DEALLOC_VGPRS)
	s_endpgm
	.section	.rodata,"a",@progbits
	.p2align	6, 0x0
	.amdhsa_kernel _Z6kernelI26subtract_left_partial_tileLj256ELj8ELb1EJPiS1_S1_jEEvDpT3_
		.amdhsa_group_segment_fixed_size 2048
		.amdhsa_private_segment_fixed_size 0
		.amdhsa_kernarg_size 28
		.amdhsa_user_sgpr_count 15
		.amdhsa_user_sgpr_dispatch_ptr 0
		.amdhsa_user_sgpr_queue_ptr 0
		.amdhsa_user_sgpr_kernarg_segment_ptr 1
		.amdhsa_user_sgpr_dispatch_id 0
		.amdhsa_user_sgpr_private_segment_size 0
		.amdhsa_wavefront_size32 1
		.amdhsa_uses_dynamic_stack 0
		.amdhsa_enable_private_segment 0
		.amdhsa_system_sgpr_workgroup_id_x 1
		.amdhsa_system_sgpr_workgroup_id_y 0
		.amdhsa_system_sgpr_workgroup_id_z 0
		.amdhsa_system_sgpr_workgroup_info 0
		.amdhsa_system_vgpr_workitem_id 0
		.amdhsa_next_free_vgpr 27
		.amdhsa_next_free_sgpr 16
		.amdhsa_reserve_vcc 1
		.amdhsa_float_round_mode_32 0
		.amdhsa_float_round_mode_16_64 0
		.amdhsa_float_denorm_mode_32 3
		.amdhsa_float_denorm_mode_16_64 3
		.amdhsa_dx10_clamp 1
		.amdhsa_ieee_mode 1
		.amdhsa_fp16_overflow 0
		.amdhsa_workgroup_processor_mode 1
		.amdhsa_memory_ordered 1
		.amdhsa_forward_progress 0
		.amdhsa_shared_vgpr_count 0
		.amdhsa_exception_fp_ieee_invalid_op 0
		.amdhsa_exception_fp_denorm_src 0
		.amdhsa_exception_fp_ieee_div_zero 0
		.amdhsa_exception_fp_ieee_overflow 0
		.amdhsa_exception_fp_ieee_underflow 0
		.amdhsa_exception_fp_ieee_inexact 0
		.amdhsa_exception_int_div_zero 0
	.end_amdhsa_kernel
	.section	.text._Z6kernelI26subtract_left_partial_tileLj256ELj8ELb1EJPiS1_S1_jEEvDpT3_,"axG",@progbits,_Z6kernelI26subtract_left_partial_tileLj256ELj8ELb1EJPiS1_S1_jEEvDpT3_,comdat
.Lfunc_end153:
	.size	_Z6kernelI26subtract_left_partial_tileLj256ELj8ELb1EJPiS1_S1_jEEvDpT3_, .Lfunc_end153-_Z6kernelI26subtract_left_partial_tileLj256ELj8ELb1EJPiS1_S1_jEEvDpT3_
                                        ; -- End function
	.section	.AMDGPU.csdata,"",@progbits
; Kernel info:
; codeLenInByte = 820
; NumSgprs: 18
; NumVgprs: 27
; ScratchSize: 0
; MemoryBound: 0
; FloatMode: 240
; IeeeMode: 1
; LDSByteSize: 2048 bytes/workgroup (compile time only)
; SGPRBlocks: 2
; VGPRBlocks: 3
; NumSGPRsForWavesPerEU: 18
; NumVGPRsForWavesPerEU: 27
; Occupancy: 16
; WaveLimiterHint : 1
; COMPUTE_PGM_RSRC2:SCRATCH_EN: 0
; COMPUTE_PGM_RSRC2:USER_SGPR: 15
; COMPUTE_PGM_RSRC2:TRAP_HANDLER: 0
; COMPUTE_PGM_RSRC2:TGID_X_EN: 1
; COMPUTE_PGM_RSRC2:TGID_Y_EN: 0
; COMPUTE_PGM_RSRC2:TGID_Z_EN: 0
; COMPUTE_PGM_RSRC2:TIDIG_COMP_CNT: 0
	.section	.text._Z6kernelI26subtract_left_partial_tileLj256ELj16ELb1EJPiS1_S1_jEEvDpT3_,"axG",@progbits,_Z6kernelI26subtract_left_partial_tileLj256ELj16ELb1EJPiS1_S1_jEEvDpT3_,comdat
	.protected	_Z6kernelI26subtract_left_partial_tileLj256ELj16ELb1EJPiS1_S1_jEEvDpT3_ ; -- Begin function _Z6kernelI26subtract_left_partial_tileLj256ELj16ELb1EJPiS1_S1_jEEvDpT3_
	.globl	_Z6kernelI26subtract_left_partial_tileLj256ELj16ELb1EJPiS1_S1_jEEvDpT3_
	.p2align	8
	.type	_Z6kernelI26subtract_left_partial_tileLj256ELj16ELb1EJPiS1_S1_jEEvDpT3_,@function
_Z6kernelI26subtract_left_partial_tileLj256ELj16ELb1EJPiS1_S1_jEEvDpT3_: ; @_Z6kernelI26subtract_left_partial_tileLj256ELj16ELb1EJPiS1_S1_jEEvDpT3_
; %bb.0:
	s_clause 0x1
	s_load_b128 s[4:7], s[0:1], 0x0
	s_load_b64 s[8:9], s[0:1], 0x10
	s_mov_b32 s13, 0
	s_lshl_b32 s12, s15, 12
	v_lshlrev_b32_e32 v17, 2, v0
	s_lshl_b64 s[2:3], s[12:13], 2
	s_mov_b32 s10, s15
	s_waitcnt lgkmcnt(0)
	s_add_u32 s4, s4, s2
	s_addc_u32 s5, s5, s3
	v_add_co_u32 v10, s11, s4, v17
	s_delay_alu instid0(VALU_DEP_1)
	v_add_co_ci_u32_e64 v11, null, s5, 0, s11
	s_clause 0x3
	global_load_b32 v4, v17, s[4:5]
	global_load_b32 v3, v17, s[4:5] offset:1024
	global_load_b32 v2, v17, s[4:5] offset:2048
	;; [unrolled: 1-line block ×3, first 2 shown]
	v_add_co_u32 v6, vcc_lo, 0x1000, v10
	v_add_co_ci_u32_e32 v7, vcc_lo, 0, v11, vcc_lo
	v_add_co_u32 v8, vcc_lo, v10, 0x2000
	v_add_co_ci_u32_e32 v9, vcc_lo, 0, v11, vcc_lo
	;; [unrolled: 2-line block ×3, first 2 shown]
	v_add_co_u32 v20, vcc_lo, 0x3000, v10
	s_clause 0x1
	global_load_b32 v5, v[8:9], off offset:-4096
	global_load_b32 v16, v[8:9], off
	v_add_co_ci_u32_e32 v21, vcc_lo, 0, v11, vcc_lo
	s_clause 0x9
	global_load_b32 v15, v[6:7], off offset:1024
	global_load_b32 v14, v[6:7], off offset:2048
	;; [unrolled: 1-line block ×6, first 2 shown]
	global_load_b32 v9, v[20:21], off
	global_load_b32 v8, v[20:21], off offset:1024
	global_load_b32 v7, v[20:21], off offset:2048
	;; [unrolled: 1-line block ×3, first 2 shown]
	s_load_b32 s5, s[0:1], 0x18
	s_mov_b32 s11, s13
	v_cmp_ne_u32_e32 vcc_lo, 0, v0
	s_lshl_b64 s[0:1], s[10:11], 2
	s_delay_alu instid0(SALU_CYCLE_1)
	s_add_u32 s0, s6, s0
	s_addc_u32 s1, s7, s1
	s_load_b32 s1, s[0:1], 0x0
	s_waitcnt lgkmcnt(0)
	v_cvt_f32_u32_e32 v18, s5
	s_sub_i32 s6, 0, s5
	s_delay_alu instid0(VALU_DEP_1) | instskip(SKIP_3) | instid1(VALU_DEP_2)
	v_rcp_iflag_f32_e32 v18, v18
	s_waitcnt_depctr 0xfff
	v_mul_f32_e32 v18, 0x4f7ffffe, v18
	v_add_nc_u32_e32 v34, -4, v17
	v_cvt_u32_f32_e32 v18, v18
	s_delay_alu instid0(VALU_DEP_1) | instskip(SKIP_1) | instid1(VALU_DEP_2)
	v_readfirstlane_b32 s4, v18
	v_lshlrev_b32_e32 v18, 4, v0
	s_mul_i32 s6, s6, s4
	s_delay_alu instid0(VALU_DEP_1)
	v_or_b32_e32 v19, 15, v18
	s_mul_hi_u32 s6, s4, s6
	v_or_b32_e32 v20, 14, v18
	s_add_i32 s4, s4, s6
	v_or_b32_e32 v21, 13, v18
	s_lshr_b32 s4, s4, 20
	v_or_b32_e32 v22, 12, v18
	s_mul_i32 s6, s4, s5
	s_add_i32 s7, s4, 1
	s_sub_i32 s6, 0x1000, s6
	v_or_b32_e32 v23, 11, v18
	s_sub_i32 s10, s6, s5
	s_cmp_ge_u32 s6, s5
	v_or_b32_e32 v24, 10, v18
	s_cselect_b32 s4, s7, s4
	s_cselect_b32 s6, s10, s6
	s_add_i32 s7, s4, 1
	s_cmp_ge_u32 s6, s5
	v_or_b32_e32 v25, 9, v18
	v_or_b32_e32 v26, 8, v18
	;; [unrolled: 1-line block ×9, first 2 shown]
	s_cselect_b32 s4, s7, s4
	s_max_u32 s5, s5, 1
	s_add_i32 s4, s4, 1
	s_branch .LBB154_2
.LBB154_1:                              ;   in Loop: Header=BB154_2 Depth=1
	s_or_b32 exec_lo, exec_lo, s0
	v_cmp_gt_u32_e64 s0, s1, v19
	s_add_i32 s5, s5, -1
	s_waitcnt lgkmcnt(0)
	s_barrier
	buffer_gl0_inv
	v_cndmask_b32_e64 v36, 0, v7, s0
	v_cmp_gt_u32_e64 s0, s1, v20
	s_delay_alu instid0(VALU_DEP_2) | instskip(NEXT) | instid1(VALU_DEP_2)
	v_sub_nc_u32_e32 v36, v6, v36
	v_cndmask_b32_e64 v37, 0, v8, s0
	v_cmp_gt_u32_e64 s0, s1, v21
	s_delay_alu instid0(VALU_DEP_3) | instskip(NEXT) | instid1(VALU_DEP_3)
	v_add_nc_u32_e32 v6, v36, v6
	v_sub_nc_u32_e32 v37, v7, v37
	s_delay_alu instid0(VALU_DEP_3) | instskip(SKIP_1) | instid1(VALU_DEP_3)
	v_cndmask_b32_e64 v38, 0, v9, s0
	v_cmp_gt_u32_e64 s0, s1, v22
	v_add_nc_u32_e32 v7, v37, v7
	s_delay_alu instid0(VALU_DEP_3) | instskip(NEXT) | instid1(VALU_DEP_3)
	v_sub_nc_u32_e32 v38, v8, v38
	v_cndmask_b32_e64 v39, 0, v10, s0
	v_cmp_gt_u32_e64 s0, s1, v23
	s_delay_alu instid0(VALU_DEP_3) | instskip(NEXT) | instid1(VALU_DEP_3)
	v_add_nc_u32_e32 v8, v38, v8
	v_sub_nc_u32_e32 v39, v9, v39
	s_delay_alu instid0(VALU_DEP_3) | instskip(SKIP_1) | instid1(VALU_DEP_3)
	v_cndmask_b32_e64 v40, 0, v11, s0
	v_cmp_gt_u32_e64 s0, s1, v24
	v_add_nc_u32_e32 v9, v39, v9
	s_delay_alu instid0(VALU_DEP_3) | instskip(NEXT) | instid1(VALU_DEP_3)
	;; [unrolled: 11-line block ×5, first 2 shown]
	v_sub_nc_u32_e32 v46, v15, v46
	v_cndmask_b32_e64 v47, 0, v2, s0
	v_cmp_gt_u32_e64 s0, s1, v33
	s_delay_alu instid0(VALU_DEP_3) | instskip(NEXT) | instid1(VALU_DEP_3)
	v_add_nc_u32_e32 v15, v46, v15
	v_sub_nc_u32_e32 v47, v1, v47
	s_delay_alu instid0(VALU_DEP_3) | instskip(SKIP_1) | instid1(VALU_DEP_2)
	v_cndmask_b32_e64 v48, 0, v4, s0
	v_cmp_gt_u32_e64 s0, s1, v18
	v_sub_nc_u32_e32 v48, v3, v48
	s_delay_alu instid0(VALU_DEP_2) | instskip(SKIP_1) | instid1(VALU_DEP_2)
	v_cndmask_b32_e64 v35, 0, v35, s0
	v_cmp_gt_u32_e64 s0, s1, v32
	v_sub_nc_u32_e32 v35, v4, v35
	s_delay_alu instid0(VALU_DEP_2) | instskip(SKIP_2) | instid1(VALU_DEP_4)
	v_cndmask_b32_e64 v49, 0, v3, s0
	v_cmp_gt_u32_e64 s0, s1, v30
	v_add_nc_u32_e32 v3, v48, v3
	v_add_nc_u32_e32 v4, v35, v4
	s_delay_alu instid0(VALU_DEP_4) | instskip(NEXT) | instid1(VALU_DEP_4)
	v_sub_nc_u32_e32 v49, v2, v49
	v_cndmask_b32_e64 v50, 0, v1, s0
	v_add_nc_u32_e32 v1, v47, v1
	s_add_i32 s0, s4, s1
	s_delay_alu instid0(VALU_DEP_3) | instskip(NEXT) | instid1(VALU_DEP_3)
	v_add_nc_u32_e32 v2, v49, v2
	v_sub_nc_u32_e32 v50, v5, v50
	s_and_b32 s1, s0, 0xfff
	s_cmp_lg_u32 s5, 0
	s_delay_alu instid0(VALU_DEP_1)
	v_add_nc_u32_e32 v5, v50, v5
	s_cbranch_scc0 .LBB154_4
.LBB154_2:                              ; =>This Inner Loop Header: Depth=1
	v_mov_b32_e32 v35, 0x7b
	s_waitcnt vmcnt(0)
	ds_store_b32 v17, v6
	s_waitcnt lgkmcnt(0)
	s_barrier
	buffer_gl0_inv
	s_and_saveexec_b32 s0, vcc_lo
	s_cbranch_execz .LBB154_1
; %bb.3:                                ;   in Loop: Header=BB154_2 Depth=1
	ds_load_b32 v35, v34
	s_branch .LBB154_1
.LBB154_4:
	v_lshlrev_b32_e32 v0, 2, v0
	s_add_u32 s0, s8, s2
	s_addc_u32 s1, s9, s3
	s_delay_alu instid0(VALU_DEP_1) | instskip(NEXT) | instid1(VALU_DEP_1)
	v_add_co_u32 v23, s2, s0, v0
	v_add_co_ci_u32_e64 v24, null, s1, 0, s2
	s_delay_alu instid0(VALU_DEP_2) | instskip(NEXT) | instid1(VALU_DEP_2)
	v_add_co_u32 v17, vcc_lo, 0x1000, v23
	v_add_co_ci_u32_e32 v18, vcc_lo, 0, v24, vcc_lo
	v_add_co_u32 v19, vcc_lo, v23, 0x2000
	v_add_co_ci_u32_e32 v20, vcc_lo, 0, v24, vcc_lo
	;; [unrolled: 2-line block ×3, first 2 shown]
	v_add_co_u32 v23, vcc_lo, 0x3000, v23
	global_store_b32 v[19:20], v16, off
	v_add_co_ci_u32_e32 v24, vcc_lo, 0, v24, vcc_lo
	s_clause 0xe
	global_store_b32 v0, v4, s[0:1]
	global_store_b32 v0, v3, s[0:1] offset:1024
	global_store_b32 v0, v2, s[0:1] offset:2048
	;; [unrolled: 1-line block ×3, first 2 shown]
	global_store_b32 v[17:18], v15, off offset:1024
	global_store_b32 v[17:18], v14, off offset:2048
	;; [unrolled: 1-line block ×6, first 2 shown]
	global_store_b32 v[23:24], v9, off
	global_store_b32 v[23:24], v8, off offset:1024
	global_store_b32 v[23:24], v7, off offset:2048
	global_store_b32 v[19:20], v5, off offset:-4096
	global_store_b32 v[23:24], v6, off offset:3072
	s_nop 0
	s_sendmsg sendmsg(MSG_DEALLOC_VGPRS)
	s_endpgm
	.section	.rodata,"a",@progbits
	.p2align	6, 0x0
	.amdhsa_kernel _Z6kernelI26subtract_left_partial_tileLj256ELj16ELb1EJPiS1_S1_jEEvDpT3_
		.amdhsa_group_segment_fixed_size 2048
		.amdhsa_private_segment_fixed_size 0
		.amdhsa_kernarg_size 28
		.amdhsa_user_sgpr_count 15
		.amdhsa_user_sgpr_dispatch_ptr 0
		.amdhsa_user_sgpr_queue_ptr 0
		.amdhsa_user_sgpr_kernarg_segment_ptr 1
		.amdhsa_user_sgpr_dispatch_id 0
		.amdhsa_user_sgpr_private_segment_size 0
		.amdhsa_wavefront_size32 1
		.amdhsa_uses_dynamic_stack 0
		.amdhsa_enable_private_segment 0
		.amdhsa_system_sgpr_workgroup_id_x 1
		.amdhsa_system_sgpr_workgroup_id_y 0
		.amdhsa_system_sgpr_workgroup_id_z 0
		.amdhsa_system_sgpr_workgroup_info 0
		.amdhsa_system_vgpr_workitem_id 0
		.amdhsa_next_free_vgpr 51
		.amdhsa_next_free_sgpr 16
		.amdhsa_reserve_vcc 1
		.amdhsa_float_round_mode_32 0
		.amdhsa_float_round_mode_16_64 0
		.amdhsa_float_denorm_mode_32 3
		.amdhsa_float_denorm_mode_16_64 3
		.amdhsa_dx10_clamp 1
		.amdhsa_ieee_mode 1
		.amdhsa_fp16_overflow 0
		.amdhsa_workgroup_processor_mode 1
		.amdhsa_memory_ordered 1
		.amdhsa_forward_progress 0
		.amdhsa_shared_vgpr_count 0
		.amdhsa_exception_fp_ieee_invalid_op 0
		.amdhsa_exception_fp_denorm_src 0
		.amdhsa_exception_fp_ieee_div_zero 0
		.amdhsa_exception_fp_ieee_overflow 0
		.amdhsa_exception_fp_ieee_underflow 0
		.amdhsa_exception_fp_ieee_inexact 0
		.amdhsa_exception_int_div_zero 0
	.end_amdhsa_kernel
	.section	.text._Z6kernelI26subtract_left_partial_tileLj256ELj16ELb1EJPiS1_S1_jEEvDpT3_,"axG",@progbits,_Z6kernelI26subtract_left_partial_tileLj256ELj16ELb1EJPiS1_S1_jEEvDpT3_,comdat
.Lfunc_end154:
	.size	_Z6kernelI26subtract_left_partial_tileLj256ELj16ELb1EJPiS1_S1_jEEvDpT3_, .Lfunc_end154-_Z6kernelI26subtract_left_partial_tileLj256ELj16ELb1EJPiS1_S1_jEEvDpT3_
                                        ; -- End function
	.section	.AMDGPU.csdata,"",@progbits
; Kernel info:
; codeLenInByte = 1324
; NumSgprs: 18
; NumVgprs: 51
; ScratchSize: 0
; MemoryBound: 0
; FloatMode: 240
; IeeeMode: 1
; LDSByteSize: 2048 bytes/workgroup (compile time only)
; SGPRBlocks: 2
; VGPRBlocks: 6
; NumSGPRsForWavesPerEU: 18
; NumVGPRsForWavesPerEU: 51
; Occupancy: 16
; WaveLimiterHint : 1
; COMPUTE_PGM_RSRC2:SCRATCH_EN: 0
; COMPUTE_PGM_RSRC2:USER_SGPR: 15
; COMPUTE_PGM_RSRC2:TRAP_HANDLER: 0
; COMPUTE_PGM_RSRC2:TGID_X_EN: 1
; COMPUTE_PGM_RSRC2:TGID_Y_EN: 0
; COMPUTE_PGM_RSRC2:TGID_Z_EN: 0
; COMPUTE_PGM_RSRC2:TIDIG_COMP_CNT: 0
	.section	.text._Z6kernelI26subtract_left_partial_tileLj256ELj32ELb1EJPiS1_S1_jEEvDpT3_,"axG",@progbits,_Z6kernelI26subtract_left_partial_tileLj256ELj32ELb1EJPiS1_S1_jEEvDpT3_,comdat
	.protected	_Z6kernelI26subtract_left_partial_tileLj256ELj32ELb1EJPiS1_S1_jEEvDpT3_ ; -- Begin function _Z6kernelI26subtract_left_partial_tileLj256ELj32ELb1EJPiS1_S1_jEEvDpT3_
	.globl	_Z6kernelI26subtract_left_partial_tileLj256ELj32ELb1EJPiS1_S1_jEEvDpT3_
	.p2align	8
	.type	_Z6kernelI26subtract_left_partial_tileLj256ELj32ELb1EJPiS1_S1_jEEvDpT3_,@function
_Z6kernelI26subtract_left_partial_tileLj256ELj32ELb1EJPiS1_S1_jEEvDpT3_: ; @_Z6kernelI26subtract_left_partial_tileLj256ELj32ELb1EJPiS1_S1_jEEvDpT3_
; %bb.0:
	s_clause 0x1
	s_load_b128 s[4:7], s[0:1], 0x0
	s_load_b64 s[8:9], s[0:1], 0x10
	s_mov_b32 s13, 0
	s_lshl_b32 s12, s15, 13
	v_lshlrev_b32_e32 v25, 2, v0
	s_lshl_b64 s[2:3], s[12:13], 2
	s_mov_b32 s10, s15
	s_waitcnt lgkmcnt(0)
	s_add_u32 s4, s4, s2
	s_addc_u32 s5, s5, s3
	v_add_co_u32 v30, s11, s4, v25
	s_delay_alu instid0(VALU_DEP_1)
	v_add_co_ci_u32_e64 v31, null, s5, 0, s11
	s_clause 0x3
	global_load_b32 v5, v25, s[4:5]
	global_load_b32 v4, v25, s[4:5] offset:1024
	global_load_b32 v3, v25, s[4:5] offset:2048
	global_load_b32 v2, v25, s[4:5] offset:3072
	v_add_co_u32 v6, vcc_lo, 0x1000, v30
	v_add_co_ci_u32_e32 v7, vcc_lo, 0, v31, vcc_lo
	v_add_co_u32 v10, vcc_lo, v30, 0x2000
	v_add_co_ci_u32_e32 v11, vcc_lo, 0, v31, vcc_lo
	;; [unrolled: 2-line block ×9, first 2 shown]
	v_add_co_u32 v36, vcc_lo, 0x7000, v30
	s_clause 0xd
	global_load_b32 v29, v[6:7], off offset:1024
	global_load_b32 v28, v[6:7], off offset:2048
	;; [unrolled: 1-line block ×8, first 2 shown]
	global_load_b32 v1, v[10:11], off offset:-4096
	global_load_b32 v14, v[10:11], off
	global_load_b32 v13, v[17:18], off offset:-4096
	global_load_b32 v12, v[17:18], off
	;; [unrolled: 2-line block ×3, first 2 shown]
	v_add_co_ci_u32_e32 v37, vcc_lo, 0, v31, vcc_lo
	s_clause 0xd
	global_load_b32 v33, v[15:16], off offset:3072
	global_load_b32 v32, v[19:20], off offset:1024
	;; [unrolled: 1-line block ×10, first 2 shown]
	global_load_b32 v18, v[36:37], off
	global_load_b32 v17, v[36:37], off offset:1024
	global_load_b32 v16, v[36:37], off offset:2048
	;; [unrolled: 1-line block ×3, first 2 shown]
	s_load_b32 s5, s[0:1], 0x18
	s_mov_b32 s11, s13
	v_cmp_ne_u32_e32 vcc_lo, 0, v0
	s_lshl_b64 s[0:1], s[10:11], 2
	s_delay_alu instid0(SALU_CYCLE_1)
	s_add_u32 s0, s6, s0
	s_addc_u32 s1, s7, s1
	s_load_b32 s1, s[0:1], 0x0
	s_waitcnt lgkmcnt(0)
	v_cvt_f32_u32_e32 v34, s5
	s_sub_i32 s6, 0, s5
	s_delay_alu instid0(VALU_DEP_1) | instskip(SKIP_3) | instid1(VALU_DEP_2)
	v_rcp_iflag_f32_e32 v34, v34
	s_waitcnt_depctr 0xfff
	v_mul_f32_e32 v34, 0x4f7ffffe, v34
	v_add_nc_u32_e32 v66, -4, v25
	v_cvt_u32_f32_e32 v34, v34
	s_delay_alu instid0(VALU_DEP_1) | instskip(SKIP_1) | instid1(VALU_DEP_2)
	v_readfirstlane_b32 s4, v34
	v_lshlrev_b32_e32 v34, 5, v0
	s_mul_i32 s6, s6, s4
	s_delay_alu instid0(VALU_DEP_1)
	v_or_b32_e32 v35, 31, v34
	s_mul_hi_u32 s6, s4, s6
	v_or_b32_e32 v36, 30, v34
	s_add_i32 s4, s4, s6
	v_or_b32_e32 v37, 29, v34
	s_lshr_b32 s4, s4, 19
	v_or_b32_e32 v38, 28, v34
	s_mul_i32 s6, s4, s5
	s_add_i32 s7, s4, 1
	s_sub_i32 s6, 0x2000, s6
	v_or_b32_e32 v39, 27, v34
	s_sub_i32 s10, s6, s5
	s_cmp_ge_u32 s6, s5
	v_or_b32_e32 v40, 26, v34
	s_cselect_b32 s4, s7, s4
	s_cselect_b32 s6, s10, s6
	s_add_i32 s7, s4, 1
	s_cmp_ge_u32 s6, s5
	v_or_b32_e32 v41, 25, v34
	v_or_b32_e32 v42, 24, v34
	;; [unrolled: 1-line block ×25, first 2 shown]
	s_cselect_b32 s4, s7, s4
	s_max_u32 s5, s5, 1
	s_add_i32 s4, s4, 1
	s_branch .LBB155_2
.LBB155_1:                              ;   in Loop: Header=BB155_2 Depth=1
	s_or_b32 exec_lo, exec_lo, s0
	v_cmp_gt_u32_e64 s0, s1, v35
	s_add_i32 s5, s5, -1
	s_waitcnt lgkmcnt(0)
	s_barrier
	buffer_gl0_inv
	v_cndmask_b32_e64 v68, 0, v16, s0
	v_cmp_gt_u32_e64 s0, s1, v36
	s_delay_alu instid0(VALU_DEP_2) | instskip(NEXT) | instid1(VALU_DEP_2)
	v_sub_nc_u32_e32 v68, v15, v68
	v_cndmask_b32_e64 v69, 0, v17, s0
	v_cmp_gt_u32_e64 s0, s1, v37
	s_delay_alu instid0(VALU_DEP_3) | instskip(NEXT) | instid1(VALU_DEP_3)
	v_add_nc_u32_e32 v15, v68, v15
	v_sub_nc_u32_e32 v69, v16, v69
	s_delay_alu instid0(VALU_DEP_3) | instskip(SKIP_1) | instid1(VALU_DEP_3)
	v_cndmask_b32_e64 v70, 0, v18, s0
	v_cmp_gt_u32_e64 s0, s1, v38
	v_add_nc_u32_e32 v16, v69, v16
	s_delay_alu instid0(VALU_DEP_3) | instskip(NEXT) | instid1(VALU_DEP_3)
	v_sub_nc_u32_e32 v70, v17, v70
	v_cndmask_b32_e64 v71, 0, v19, s0
	v_cmp_gt_u32_e64 s0, s1, v39
	s_delay_alu instid0(VALU_DEP_3) | instskip(NEXT) | instid1(VALU_DEP_3)
	v_add_nc_u32_e32 v17, v70, v17
	v_sub_nc_u32_e32 v71, v18, v71
	s_delay_alu instid0(VALU_DEP_3) | instskip(SKIP_1) | instid1(VALU_DEP_3)
	v_cndmask_b32_e64 v72, 0, v20, s0
	v_cmp_gt_u32_e64 s0, s1, v40
	v_add_nc_u32_e32 v18, v71, v18
	s_delay_alu instid0(VALU_DEP_3) | instskip(NEXT) | instid1(VALU_DEP_3)
	;; [unrolled: 11-line block ×11, first 2 shown]
	v_sub_nc_u32_e32 v90, v26, v90
	v_cndmask_b32_e64 v67, 0, v67, s0
	v_cmp_gt_u32_e64 s0, s1, v59
	s_delay_alu instid0(VALU_DEP_3) | instskip(NEXT) | instid1(VALU_DEP_3)
	v_add_nc_u32_e32 v26, v90, v26
	v_sub_nc_u32_e32 v67, v5, v67
	s_delay_alu instid0(VALU_DEP_3) | instskip(SKIP_1) | instid1(VALU_DEP_2)
	v_cndmask_b32_e64 v91, 0, v28, s0
	v_cmp_gt_u32_e64 s0, s1, v65
	v_sub_nc_u32_e32 v91, v27, v91
	s_delay_alu instid0(VALU_DEP_2) | instskip(SKIP_2) | instid1(VALU_DEP_3)
	v_cndmask_b32_e64 v92, 0, v5, s0
	v_cmp_gt_u32_e64 s0, s1, v63
	v_add_nc_u32_e32 v5, v67, v5
	v_sub_nc_u32_e32 v92, v4, v92
	s_delay_alu instid0(VALU_DEP_3) | instskip(SKIP_1) | instid1(VALU_DEP_2)
	v_cndmask_b32_e64 v93, 0, v3, s0
	v_cmp_gt_u32_e64 s0, s1, v64
	v_sub_nc_u32_e32 v93, v2, v93
	s_delay_alu instid0(VALU_DEP_2) | instskip(SKIP_2) | instid1(VALU_DEP_3)
	v_cndmask_b32_e64 v94, 0, v4, s0
	v_cmp_gt_u32_e64 s0, s1, v60
	v_add_nc_u32_e32 v4, v92, v4
	v_sub_nc_u32_e32 v94, v3, v94
	s_delay_alu instid0(VALU_DEP_3) | instskip(SKIP_1) | instid1(VALU_DEP_3)
	v_cndmask_b32_e64 v67, 0, v29, s0
	v_cmp_gt_u32_e64 s0, s1, v62
	v_add_nc_u32_e32 v3, v94, v3
	s_delay_alu instid0(VALU_DEP_3) | instskip(NEXT) | instid1(VALU_DEP_3)
	v_sub_nc_u32_e32 v67, v28, v67
	v_cndmask_b32_e64 v92, 0, v2, s0
	v_cmp_gt_u32_e64 s0, s1, v61
	v_add_nc_u32_e32 v2, v93, v2
	s_delay_alu instid0(VALU_DEP_4) | instskip(NEXT) | instid1(VALU_DEP_4)
	v_add_nc_u32_e32 v28, v67, v28
	v_sub_nc_u32_e32 v92, v1, v92
	s_delay_alu instid0(VALU_DEP_4) | instskip(SKIP_1) | instid1(VALU_DEP_3)
	v_cndmask_b32_e64 v94, 0, v1, s0
	v_cmp_gt_u32_e64 s0, s1, v58
	v_add_nc_u32_e32 v1, v92, v1
	s_delay_alu instid0(VALU_DEP_3) | instskip(NEXT) | instid1(VALU_DEP_3)
	v_sub_nc_u32_e32 v94, v29, v94
	v_cndmask_b32_e64 v93, 0, v27, s0
	v_add_nc_u32_e32 v27, v91, v27
	s_add_i32 s0, s4, s1
	s_delay_alu instid0(VALU_DEP_3) | instskip(NEXT) | instid1(VALU_DEP_3)
	v_add_nc_u32_e32 v29, v94, v29
	v_sub_nc_u32_e32 v93, v14, v93
	s_and_b32 s1, s0, 0x1fff
	s_cmp_lg_u32 s5, 0
	s_delay_alu instid0(VALU_DEP_1)
	v_add_nc_u32_e32 v14, v93, v14
	s_cbranch_scc0 .LBB155_4
.LBB155_2:                              ; =>This Inner Loop Header: Depth=1
	v_mov_b32_e32 v67, 0x7b
	s_waitcnt vmcnt(0)
	ds_store_b32 v25, v15
	s_waitcnt lgkmcnt(0)
	s_barrier
	buffer_gl0_inv
	s_and_saveexec_b32 s0, vcc_lo
	s_cbranch_execz .LBB155_1
; %bb.3:                                ;   in Loop: Header=BB155_2 Depth=1
	ds_load_b32 v67, v66
	s_branch .LBB155_1
.LBB155_4:
	v_lshlrev_b32_e32 v0, 2, v0
	s_add_u32 s0, s8, s2
	s_addc_u32 s1, s9, s3
	s_delay_alu instid0(VALU_DEP_1) | instskip(NEXT) | instid1(VALU_DEP_1)
	v_add_co_u32 v40, s2, s0, v0
	v_add_co_ci_u32_e64 v41, null, s1, 0, s2
	s_delay_alu instid0(VALU_DEP_2) | instskip(NEXT) | instid1(VALU_DEP_2)
	v_add_co_u32 v34, vcc_lo, 0x1000, v40
	v_add_co_ci_u32_e32 v35, vcc_lo, 0, v41, vcc_lo
	v_add_co_u32 v36, vcc_lo, v40, 0x2000
	v_add_co_ci_u32_e32 v37, vcc_lo, 0, v41, vcc_lo
	;; [unrolled: 2-line block ×3, first 2 shown]
	s_clause 0x7
	global_store_b32 v0, v5, s[0:1]
	global_store_b32 v0, v4, s[0:1] offset:1024
	global_store_b32 v0, v3, s[0:1] offset:2048
	;; [unrolled: 1-line block ×3, first 2 shown]
	global_store_b32 v[34:35], v29, off offset:1024
	global_store_b32 v[34:35], v28, off offset:2048
	;; [unrolled: 1-line block ×4, first 2 shown]
	v_add_co_u32 v2, vcc_lo, 0x3000, v40
	v_add_co_ci_u32_e32 v3, vcc_lo, 0, v41, vcc_lo
	v_add_co_u32 v4, vcc_lo, v40, 0x4000
	v_add_co_ci_u32_e32 v5, vcc_lo, 0, v41, vcc_lo
	;; [unrolled: 2-line block ×3, first 2 shown]
	s_clause 0x7
	global_store_b32 v[38:39], v7, off offset:2048
	global_store_b32 v[38:39], v6, off offset:3072
	;; [unrolled: 1-line block ×8, first 2 shown]
	v_add_co_u32 v2, vcc_lo, 0x5000, v40
	v_add_co_ci_u32_e32 v3, vcc_lo, 0, v41, vcc_lo
	v_add_co_u32 v6, vcc_lo, v40, 0x6000
	v_add_co_ci_u32_e32 v7, vcc_lo, 0, v41, vcc_lo
	;; [unrolled: 2-line block ×3, first 2 shown]
	s_clause 0x4
	global_store_b32 v[36:37], v14, off
	global_store_b32 v[4:5], v13, off offset:-4096
	global_store_b32 v[4:5], v12, off
	global_store_b32 v[6:7], v11, off offset:-4096
	global_store_b32 v[6:7], v10, off
	v_add_co_u32 v4, vcc_lo, 0x7000, v40
	v_add_co_ci_u32_e32 v5, vcc_lo, 0, v41, vcc_lo
	s_clause 0xa
	global_store_b32 v[2:3], v24, off offset:1024
	global_store_b32 v[2:3], v23, off offset:2048
	;; [unrolled: 1-line block ×6, first 2 shown]
	global_store_b32 v[4:5], v18, off
	global_store_b32 v[4:5], v17, off offset:1024
	global_store_b32 v[4:5], v16, off offset:2048
	global_store_b32 v[36:37], v1, off offset:-4096
	global_store_b32 v[4:5], v15, off offset:3072
	s_nop 0
	s_sendmsg sendmsg(MSG_DEALLOC_VGPRS)
	s_endpgm
	.section	.rodata,"a",@progbits
	.p2align	6, 0x0
	.amdhsa_kernel _Z6kernelI26subtract_left_partial_tileLj256ELj32ELb1EJPiS1_S1_jEEvDpT3_
		.amdhsa_group_segment_fixed_size 2048
		.amdhsa_private_segment_fixed_size 0
		.amdhsa_kernarg_size 28
		.amdhsa_user_sgpr_count 15
		.amdhsa_user_sgpr_dispatch_ptr 0
		.amdhsa_user_sgpr_queue_ptr 0
		.amdhsa_user_sgpr_kernarg_segment_ptr 1
		.amdhsa_user_sgpr_dispatch_id 0
		.amdhsa_user_sgpr_private_segment_size 0
		.amdhsa_wavefront_size32 1
		.amdhsa_uses_dynamic_stack 0
		.amdhsa_enable_private_segment 0
		.amdhsa_system_sgpr_workgroup_id_x 1
		.amdhsa_system_sgpr_workgroup_id_y 0
		.amdhsa_system_sgpr_workgroup_id_z 0
		.amdhsa_system_sgpr_workgroup_info 0
		.amdhsa_system_vgpr_workitem_id 0
		.amdhsa_next_free_vgpr 95
		.amdhsa_next_free_sgpr 16
		.amdhsa_reserve_vcc 1
		.amdhsa_float_round_mode_32 0
		.amdhsa_float_round_mode_16_64 0
		.amdhsa_float_denorm_mode_32 3
		.amdhsa_float_denorm_mode_16_64 3
		.amdhsa_dx10_clamp 1
		.amdhsa_ieee_mode 1
		.amdhsa_fp16_overflow 0
		.amdhsa_workgroup_processor_mode 1
		.amdhsa_memory_ordered 1
		.amdhsa_forward_progress 0
		.amdhsa_shared_vgpr_count 0
		.amdhsa_exception_fp_ieee_invalid_op 0
		.amdhsa_exception_fp_denorm_src 0
		.amdhsa_exception_fp_ieee_div_zero 0
		.amdhsa_exception_fp_ieee_overflow 0
		.amdhsa_exception_fp_ieee_underflow 0
		.amdhsa_exception_fp_ieee_inexact 0
		.amdhsa_exception_int_div_zero 0
	.end_amdhsa_kernel
	.section	.text._Z6kernelI26subtract_left_partial_tileLj256ELj32ELb1EJPiS1_S1_jEEvDpT3_,"axG",@progbits,_Z6kernelI26subtract_left_partial_tileLj256ELj32ELb1EJPiS1_S1_jEEvDpT3_,comdat
.Lfunc_end155:
	.size	_Z6kernelI26subtract_left_partial_tileLj256ELj32ELb1EJPiS1_S1_jEEvDpT3_, .Lfunc_end155-_Z6kernelI26subtract_left_partial_tileLj256ELj32ELb1EJPiS1_S1_jEEvDpT3_
                                        ; -- End function
	.section	.AMDGPU.csdata,"",@progbits
; Kernel info:
; codeLenInByte = 2324
; NumSgprs: 18
; NumVgprs: 95
; ScratchSize: 0
; MemoryBound: 0
; FloatMode: 240
; IeeeMode: 1
; LDSByteSize: 2048 bytes/workgroup (compile time only)
; SGPRBlocks: 2
; VGPRBlocks: 11
; NumSGPRsForWavesPerEU: 18
; NumVGPRsForWavesPerEU: 95
; Occupancy: 16
; WaveLimiterHint : 1
; COMPUTE_PGM_RSRC2:SCRATCH_EN: 0
; COMPUTE_PGM_RSRC2:USER_SGPR: 15
; COMPUTE_PGM_RSRC2:TRAP_HANDLER: 0
; COMPUTE_PGM_RSRC2:TGID_X_EN: 1
; COMPUTE_PGM_RSRC2:TGID_Y_EN: 0
; COMPUTE_PGM_RSRC2:TGID_Z_EN: 0
; COMPUTE_PGM_RSRC2:TIDIG_COMP_CNT: 0
	.section	.text._Z6kernelI26subtract_left_partial_tileLj256ELj1ELb1EJPfPiS1_jEEvDpT3_,"axG",@progbits,_Z6kernelI26subtract_left_partial_tileLj256ELj1ELb1EJPfPiS1_jEEvDpT3_,comdat
	.protected	_Z6kernelI26subtract_left_partial_tileLj256ELj1ELb1EJPfPiS1_jEEvDpT3_ ; -- Begin function _Z6kernelI26subtract_left_partial_tileLj256ELj1ELb1EJPfPiS1_jEEvDpT3_
	.globl	_Z6kernelI26subtract_left_partial_tileLj256ELj1ELb1EJPfPiS1_jEEvDpT3_
	.p2align	8
	.type	_Z6kernelI26subtract_left_partial_tileLj256ELj1ELb1EJPfPiS1_jEEvDpT3_,@function
_Z6kernelI26subtract_left_partial_tileLj256ELj1ELb1EJPfPiS1_jEEvDpT3_: ; @_Z6kernelI26subtract_left_partial_tileLj256ELj1ELb1EJPfPiS1_jEEvDpT3_
; %bb.0:
	s_clause 0x1
	s_load_b128 s[8:11], s[0:1], 0x0
	s_load_b64 s[4:5], s[0:1], 0x10
	s_lshl_b32 s12, s15, 8
	s_mov_b32 s13, 0
	v_lshlrev_b32_e32 v2, 2, v0
	s_lshl_b64 s[2:3], s[12:13], 2
	s_mov_b32 s6, s15
	s_mov_b32 s7, s13
	v_cmp_ne_u32_e32 vcc_lo, 0, v0
	s_waitcnt lgkmcnt(0)
	s_add_u32 s8, s8, s2
	s_addc_u32 s9, s9, s3
	global_load_b32 v1, v2, s[8:9]
	s_load_b32 s8, s[0:1], 0x18
	s_lshl_b64 s[0:1], s[6:7], 2
	s_delay_alu instid0(SALU_CYCLE_1)
	s_add_u32 s0, s10, s0
	s_addc_u32 s1, s11, s1
	s_load_b32 s1, s[0:1], 0x0
	s_waitcnt lgkmcnt(0)
	v_cvt_f32_u32_e32 v3, s8
	s_sub_i32 s7, 0, s8
	s_delay_alu instid0(VALU_DEP_1) | instskip(SKIP_2) | instid1(VALU_DEP_1)
	v_rcp_iflag_f32_e32 v3, v3
	s_waitcnt_depctr 0xfff
	v_mul_f32_e32 v3, 0x4f7ffffe, v3
	v_cvt_u32_f32_e32 v3, v3
	s_delay_alu instid0(VALU_DEP_1) | instskip(SKIP_1) | instid1(VALU_DEP_2)
	v_readfirstlane_b32 s6, v3
	v_add_nc_u32_e32 v3, -4, v2
	s_mul_i32 s7, s7, s6
	s_delay_alu instid0(SALU_CYCLE_1) | instskip(NEXT) | instid1(SALU_CYCLE_1)
	s_mul_hi_u32 s7, s6, s7
	s_add_i32 s6, s6, s7
	s_delay_alu instid0(SALU_CYCLE_1) | instskip(NEXT) | instid1(SALU_CYCLE_1)
	s_lshr_b32 s6, s6, 24
	s_mul_i32 s0, s6, s8
	s_add_i32 s7, s6, 1
	s_sub_i32 s0, 0x100, s0
	s_delay_alu instid0(SALU_CYCLE_1)
	s_sub_i32 s9, s0, s8
	s_cmp_ge_u32 s0, s8
	s_cselect_b32 s6, s7, s6
	s_cselect_b32 s0, s9, s0
	s_add_i32 s7, s6, 1
	s_cmp_ge_u32 s0, s8
	s_cselect_b32 s6, s7, s6
	s_max_u32 s7, s8, 1
	s_add_i32 s6, s6, 1
	s_branch .LBB156_2
	.p2align	6
.LBB156_1:                              ;   in Loop: Header=BB156_2 Depth=1
	s_or_b32 exec_lo, exec_lo, s0
	s_waitcnt lgkmcnt(0)
	v_sub_f32_e32 v4, v1, v4
	v_cmp_gt_u32_e64 s0, s1, v0
	s_add_i32 s7, s7, -1
	s_barrier
	buffer_gl0_inv
	v_cndmask_b32_e64 v4, v1, v4, s0
	s_add_i32 s0, s6, s1
	s_delay_alu instid0(SALU_CYCLE_1) | instskip(SKIP_1) | instid1(VALU_DEP_1)
	s_and_b32 s1, s0, 0xff
	s_cmp_lg_u32 s7, 0
	v_add_f32_e32 v1, v1, v4
	s_cbranch_scc0 .LBB156_4
.LBB156_2:                              ; =>This Inner Loop Header: Depth=1
	v_mov_b32_e32 v4, 0x42f60000
	s_waitcnt vmcnt(0)
	ds_store_b32 v2, v1
	s_waitcnt lgkmcnt(0)
	s_barrier
	buffer_gl0_inv
	s_and_saveexec_b32 s0, vcc_lo
	s_cbranch_execz .LBB156_1
; %bb.3:                                ;   in Loop: Header=BB156_2 Depth=1
	ds_load_b32 v4, v3
	s_branch .LBB156_1
.LBB156_4:
	v_lshlrev_b32_e32 v0, 2, v0
	s_add_u32 s0, s4, s2
	s_addc_u32 s1, s5, s3
	global_store_b32 v0, v1, s[0:1]
	s_nop 0
	s_sendmsg sendmsg(MSG_DEALLOC_VGPRS)
	s_endpgm
	.section	.rodata,"a",@progbits
	.p2align	6, 0x0
	.amdhsa_kernel _Z6kernelI26subtract_left_partial_tileLj256ELj1ELb1EJPfPiS1_jEEvDpT3_
		.amdhsa_group_segment_fixed_size 2048
		.amdhsa_private_segment_fixed_size 0
		.amdhsa_kernarg_size 28
		.amdhsa_user_sgpr_count 15
		.amdhsa_user_sgpr_dispatch_ptr 0
		.amdhsa_user_sgpr_queue_ptr 0
		.amdhsa_user_sgpr_kernarg_segment_ptr 1
		.amdhsa_user_sgpr_dispatch_id 0
		.amdhsa_user_sgpr_private_segment_size 0
		.amdhsa_wavefront_size32 1
		.amdhsa_uses_dynamic_stack 0
		.amdhsa_enable_private_segment 0
		.amdhsa_system_sgpr_workgroup_id_x 1
		.amdhsa_system_sgpr_workgroup_id_y 0
		.amdhsa_system_sgpr_workgroup_id_z 0
		.amdhsa_system_sgpr_workgroup_info 0
		.amdhsa_system_vgpr_workitem_id 0
		.amdhsa_next_free_vgpr 5
		.amdhsa_next_free_sgpr 16
		.amdhsa_reserve_vcc 1
		.amdhsa_float_round_mode_32 0
		.amdhsa_float_round_mode_16_64 0
		.amdhsa_float_denorm_mode_32 3
		.amdhsa_float_denorm_mode_16_64 3
		.amdhsa_dx10_clamp 1
		.amdhsa_ieee_mode 1
		.amdhsa_fp16_overflow 0
		.amdhsa_workgroup_processor_mode 1
		.amdhsa_memory_ordered 1
		.amdhsa_forward_progress 0
		.amdhsa_shared_vgpr_count 0
		.amdhsa_exception_fp_ieee_invalid_op 0
		.amdhsa_exception_fp_denorm_src 0
		.amdhsa_exception_fp_ieee_div_zero 0
		.amdhsa_exception_fp_ieee_overflow 0
		.amdhsa_exception_fp_ieee_underflow 0
		.amdhsa_exception_fp_ieee_inexact 0
		.amdhsa_exception_int_div_zero 0
	.end_amdhsa_kernel
	.section	.text._Z6kernelI26subtract_left_partial_tileLj256ELj1ELb1EJPfPiS1_jEEvDpT3_,"axG",@progbits,_Z6kernelI26subtract_left_partial_tileLj256ELj1ELb1EJPfPiS1_jEEvDpT3_,comdat
.Lfunc_end156:
	.size	_Z6kernelI26subtract_left_partial_tileLj256ELj1ELb1EJPfPiS1_jEEvDpT3_, .Lfunc_end156-_Z6kernelI26subtract_left_partial_tileLj256ELj1ELb1EJPfPiS1_jEEvDpT3_
                                        ; -- End function
	.section	.AMDGPU.csdata,"",@progbits
; Kernel info:
; codeLenInByte = 392
; NumSgprs: 18
; NumVgprs: 5
; ScratchSize: 0
; MemoryBound: 0
; FloatMode: 240
; IeeeMode: 1
; LDSByteSize: 2048 bytes/workgroup (compile time only)
; SGPRBlocks: 2
; VGPRBlocks: 0
; NumSGPRsForWavesPerEU: 18
; NumVGPRsForWavesPerEU: 5
; Occupancy: 16
; WaveLimiterHint : 0
; COMPUTE_PGM_RSRC2:SCRATCH_EN: 0
; COMPUTE_PGM_RSRC2:USER_SGPR: 15
; COMPUTE_PGM_RSRC2:TRAP_HANDLER: 0
; COMPUTE_PGM_RSRC2:TGID_X_EN: 1
; COMPUTE_PGM_RSRC2:TGID_Y_EN: 0
; COMPUTE_PGM_RSRC2:TGID_Z_EN: 0
; COMPUTE_PGM_RSRC2:TIDIG_COMP_CNT: 0
	.section	.text._Z6kernelI26subtract_left_partial_tileLj256ELj3ELb1EJPfPiS1_jEEvDpT3_,"axG",@progbits,_Z6kernelI26subtract_left_partial_tileLj256ELj3ELb1EJPfPiS1_jEEvDpT3_,comdat
	.protected	_Z6kernelI26subtract_left_partial_tileLj256ELj3ELb1EJPfPiS1_jEEvDpT3_ ; -- Begin function _Z6kernelI26subtract_left_partial_tileLj256ELj3ELb1EJPfPiS1_jEEvDpT3_
	.globl	_Z6kernelI26subtract_left_partial_tileLj256ELj3ELb1EJPfPiS1_jEEvDpT3_
	.p2align	8
	.type	_Z6kernelI26subtract_left_partial_tileLj256ELj3ELb1EJPfPiS1_jEEvDpT3_,@function
_Z6kernelI26subtract_left_partial_tileLj256ELj3ELb1EJPfPiS1_jEEvDpT3_: ; @_Z6kernelI26subtract_left_partial_tileLj256ELj3ELb1EJPfPiS1_jEEvDpT3_
; %bb.0:
	s_clause 0x1
	s_load_b128 s[8:11], s[0:1], 0x0
	s_load_b64 s[4:5], s[0:1], 0x10
	s_mov_b32 s13, 0
	s_mul_i32 s12, s15, 0x300
	v_lshlrev_b32_e32 v4, 2, v0
	s_lshl_b64 s[2:3], s[12:13], 2
	s_mov_b32 s6, s15
	s_mov_b32 s7, s13
	v_mad_u32_u24 v6, v0, 3, 2
	v_mad_u32_u24 v7, v0, 3, 1
	v_cmp_ne_u32_e32 vcc_lo, 0, v0
	s_waitcnt lgkmcnt(0)
	s_add_u32 s8, s8, s2
	s_addc_u32 s9, s9, s3
	s_clause 0x2
	global_load_b32 v1, v4, s[8:9]
	global_load_b32 v2, v4, s[8:9] offset:1024
	global_load_b32 v3, v4, s[8:9] offset:2048
	s_load_b32 s8, s[0:1], 0x18
	s_lshl_b64 s[0:1], s[6:7], 2
	s_delay_alu instid0(SALU_CYCLE_1)
	s_add_u32 s0, s10, s0
	s_addc_u32 s1, s11, s1
	s_load_b32 s1, s[0:1], 0x0
	s_waitcnt lgkmcnt(0)
	v_cvt_f32_u32_e32 v5, s8
	s_sub_i32 s7, 0, s8
	s_delay_alu instid0(VALU_DEP_1) | instskip(SKIP_2) | instid1(VALU_DEP_1)
	v_rcp_iflag_f32_e32 v5, v5
	s_waitcnt_depctr 0xfff
	v_dual_mul_f32 v5, 0x4f7ffffe, v5 :: v_dual_add_nc_u32 v8, -4, v4
	v_cvt_u32_f32_e32 v5, v5
	s_delay_alu instid0(VALU_DEP_1) | instskip(SKIP_1) | instid1(VALU_DEP_2)
	v_readfirstlane_b32 s6, v5
	v_mul_u32_u24_e32 v5, 3, v0
	s_mul_i32 s7, s7, s6
	s_delay_alu instid0(SALU_CYCLE_1) | instskip(NEXT) | instid1(SALU_CYCLE_1)
	s_mul_hi_u32 s7, s6, s7
	s_add_i32 s6, s6, s7
	s_delay_alu instid0(SALU_CYCLE_1) | instskip(NEXT) | instid1(SALU_CYCLE_1)
	s_mul_hi_u32 s6, s6, 0x300
	s_mul_i32 s7, s6, s8
	s_delay_alu instid0(SALU_CYCLE_1)
	s_sub_i32 s0, 0x300, s7
	s_add_i32 s7, s6, 1
	s_sub_i32 s9, s0, s8
	s_cmp_ge_u32 s0, s8
	s_cselect_b32 s6, s7, s6
	s_cselect_b32 s0, s9, s0
	s_add_i32 s7, s6, 1
	s_cmp_ge_u32 s0, s8
	s_cselect_b32 s6, s7, s6
	s_max_u32 s7, s8, 1
	s_add_i32 s6, s6, 1
	s_set_inst_prefetch_distance 0x1
	s_branch .LBB157_2
	.p2align	6
.LBB157_1:                              ;   in Loop: Header=BB157_2 Depth=1
	s_or_b32 exec_lo, exec_lo, s0
	v_dual_sub_f32 v10, v2, v1 :: v_dual_sub_f32 v11, v3, v2
	v_cmp_gt_u32_e64 s0, s1, v7
	s_add_i32 s8, s6, s1
	s_add_i32 s7, s7, -1
	s_waitcnt lgkmcnt(0)
	s_barrier
	v_cndmask_b32_e64 v10, v2, v10, s0
	v_sub_f32_e32 v9, v1, v9
	v_cmp_gt_u32_e64 s0, s1, v5
	buffer_gl0_inv
	v_add_f32_e32 v2, v2, v10
	v_cndmask_b32_e64 v9, v1, v9, s0
	v_cmp_gt_u32_e64 s0, s1, v6
	s_delay_alu instid0(VALU_DEP_2) | instskip(NEXT) | instid1(VALU_DEP_2)
	v_add_f32_e32 v1, v1, v9
	v_cndmask_b32_e64 v11, v3, v11, s0
	s_mul_hi_u32 s0, s8, 0xaaaaaaab
	s_delay_alu instid0(SALU_CYCLE_1) | instskip(NEXT) | instid1(SALU_CYCLE_1)
	s_lshr_b32 s0, s0, 9
	s_mulk_i32 s0, 0x300
	s_delay_alu instid0(VALU_DEP_1)
	v_add_f32_e32 v3, v3, v11
	s_sub_i32 s1, s8, s0
	s_cmp_lg_u32 s7, 0
	s_cbranch_scc0 .LBB157_4
.LBB157_2:                              ; =>This Inner Loop Header: Depth=1
	v_mov_b32_e32 v9, 0x42f60000
	s_waitcnt vmcnt(0)
	ds_store_b32 v4, v3
	s_waitcnt lgkmcnt(0)
	s_barrier
	buffer_gl0_inv
	s_and_saveexec_b32 s0, vcc_lo
	s_cbranch_execz .LBB157_1
; %bb.3:                                ;   in Loop: Header=BB157_2 Depth=1
	ds_load_b32 v9, v8
	s_branch .LBB157_1
.LBB157_4:
	s_set_inst_prefetch_distance 0x2
	v_lshlrev_b32_e32 v0, 2, v0
	s_add_u32 s0, s4, s2
	s_addc_u32 s1, s5, s3
	s_clause 0x2
	global_store_b32 v0, v1, s[0:1]
	global_store_b32 v0, v2, s[0:1] offset:1024
	global_store_b32 v0, v3, s[0:1] offset:2048
	s_nop 0
	s_sendmsg sendmsg(MSG_DEALLOC_VGPRS)
	s_endpgm
	.section	.rodata,"a",@progbits
	.p2align	6, 0x0
	.amdhsa_kernel _Z6kernelI26subtract_left_partial_tileLj256ELj3ELb1EJPfPiS1_jEEvDpT3_
		.amdhsa_group_segment_fixed_size 2048
		.amdhsa_private_segment_fixed_size 0
		.amdhsa_kernarg_size 28
		.amdhsa_user_sgpr_count 15
		.amdhsa_user_sgpr_dispatch_ptr 0
		.amdhsa_user_sgpr_queue_ptr 0
		.amdhsa_user_sgpr_kernarg_segment_ptr 1
		.amdhsa_user_sgpr_dispatch_id 0
		.amdhsa_user_sgpr_private_segment_size 0
		.amdhsa_wavefront_size32 1
		.amdhsa_uses_dynamic_stack 0
		.amdhsa_enable_private_segment 0
		.amdhsa_system_sgpr_workgroup_id_x 1
		.amdhsa_system_sgpr_workgroup_id_y 0
		.amdhsa_system_sgpr_workgroup_id_z 0
		.amdhsa_system_sgpr_workgroup_info 0
		.amdhsa_system_vgpr_workitem_id 0
		.amdhsa_next_free_vgpr 12
		.amdhsa_next_free_sgpr 16
		.amdhsa_reserve_vcc 1
		.amdhsa_float_round_mode_32 0
		.amdhsa_float_round_mode_16_64 0
		.amdhsa_float_denorm_mode_32 3
		.amdhsa_float_denorm_mode_16_64 3
		.amdhsa_dx10_clamp 1
		.amdhsa_ieee_mode 1
		.amdhsa_fp16_overflow 0
		.amdhsa_workgroup_processor_mode 1
		.amdhsa_memory_ordered 1
		.amdhsa_forward_progress 0
		.amdhsa_shared_vgpr_count 0
		.amdhsa_exception_fp_ieee_invalid_op 0
		.amdhsa_exception_fp_denorm_src 0
		.amdhsa_exception_fp_ieee_div_zero 0
		.amdhsa_exception_fp_ieee_overflow 0
		.amdhsa_exception_fp_ieee_underflow 0
		.amdhsa_exception_fp_ieee_inexact 0
		.amdhsa_exception_int_div_zero 0
	.end_amdhsa_kernel
	.section	.text._Z6kernelI26subtract_left_partial_tileLj256ELj3ELb1EJPfPiS1_jEEvDpT3_,"axG",@progbits,_Z6kernelI26subtract_left_partial_tileLj256ELj3ELb1EJPfPiS1_jEEvDpT3_,comdat
.Lfunc_end157:
	.size	_Z6kernelI26subtract_left_partial_tileLj256ELj3ELb1EJPfPiS1_jEEvDpT3_, .Lfunc_end157-_Z6kernelI26subtract_left_partial_tileLj256ELj3ELb1EJPfPiS1_jEEvDpT3_
                                        ; -- End function
	.section	.AMDGPU.csdata,"",@progbits
; Kernel info:
; codeLenInByte = 536
; NumSgprs: 18
; NumVgprs: 12
; ScratchSize: 0
; MemoryBound: 0
; FloatMode: 240
; IeeeMode: 1
; LDSByteSize: 2048 bytes/workgroup (compile time only)
; SGPRBlocks: 2
; VGPRBlocks: 1
; NumSGPRsForWavesPerEU: 18
; NumVGPRsForWavesPerEU: 12
; Occupancy: 16
; WaveLimiterHint : 1
; COMPUTE_PGM_RSRC2:SCRATCH_EN: 0
; COMPUTE_PGM_RSRC2:USER_SGPR: 15
; COMPUTE_PGM_RSRC2:TRAP_HANDLER: 0
; COMPUTE_PGM_RSRC2:TGID_X_EN: 1
; COMPUTE_PGM_RSRC2:TGID_Y_EN: 0
; COMPUTE_PGM_RSRC2:TGID_Z_EN: 0
; COMPUTE_PGM_RSRC2:TIDIG_COMP_CNT: 0
	.section	.text._Z6kernelI26subtract_left_partial_tileLj256ELj4ELb1EJPfPiS1_jEEvDpT3_,"axG",@progbits,_Z6kernelI26subtract_left_partial_tileLj256ELj4ELb1EJPfPiS1_jEEvDpT3_,comdat
	.protected	_Z6kernelI26subtract_left_partial_tileLj256ELj4ELb1EJPfPiS1_jEEvDpT3_ ; -- Begin function _Z6kernelI26subtract_left_partial_tileLj256ELj4ELb1EJPfPiS1_jEEvDpT3_
	.globl	_Z6kernelI26subtract_left_partial_tileLj256ELj4ELb1EJPfPiS1_jEEvDpT3_
	.p2align	8
	.type	_Z6kernelI26subtract_left_partial_tileLj256ELj4ELb1EJPfPiS1_jEEvDpT3_,@function
_Z6kernelI26subtract_left_partial_tileLj256ELj4ELb1EJPfPiS1_jEEvDpT3_: ; @_Z6kernelI26subtract_left_partial_tileLj256ELj4ELb1EJPfPiS1_jEEvDpT3_
; %bb.0:
	s_clause 0x1
	s_load_b128 s[8:11], s[0:1], 0x0
	s_load_b64 s[4:5], s[0:1], 0x10
	s_mov_b32 s13, 0
	s_lshl_b32 s12, s15, 10
	v_lshlrev_b32_e32 v5, 2, v0
	s_lshl_b64 s[2:3], s[12:13], 2
	s_mov_b32 s6, s15
	s_mov_b32 s7, s13
	v_cmp_ne_u32_e32 vcc_lo, 0, v0
	s_waitcnt lgkmcnt(0)
	s_add_u32 s8, s8, s2
	s_addc_u32 s9, s9, s3
	s_clause 0x3
	global_load_b32 v1, v5, s[8:9]
	global_load_b32 v2, v5, s[8:9] offset:1024
	global_load_b32 v3, v5, s[8:9] offset:2048
	;; [unrolled: 1-line block ×3, first 2 shown]
	s_load_b32 s8, s[0:1], 0x18
	s_lshl_b64 s[0:1], s[6:7], 2
	s_delay_alu instid0(SALU_CYCLE_1)
	s_add_u32 s0, s10, s0
	s_addc_u32 s1, s11, s1
	s_load_b32 s1, s[0:1], 0x0
	s_waitcnt lgkmcnt(0)
	v_cvt_f32_u32_e32 v6, s8
	s_sub_i32 s7, 0, s8
	s_delay_alu instid0(VALU_DEP_1)
	v_rcp_iflag_f32_e32 v6, v6
	s_waitcnt_depctr 0xfff
	v_mul_f32_e32 v6, 0x4f7ffffe, v6
	v_or_b32_e32 v7, 2, v5
	v_or_b32_e32 v8, 1, v5
	v_add_nc_u32_e32 v9, -4, v5
	s_delay_alu instid0(VALU_DEP_4) | instskip(NEXT) | instid1(VALU_DEP_1)
	v_cvt_u32_f32_e32 v6, v6
	v_readfirstlane_b32 s6, v6
	v_or_b32_e32 v6, 3, v5
	s_delay_alu instid0(VALU_DEP_2) | instskip(NEXT) | instid1(SALU_CYCLE_1)
	s_mul_i32 s7, s7, s6
	s_mul_hi_u32 s7, s6, s7
	s_delay_alu instid0(SALU_CYCLE_1) | instskip(NEXT) | instid1(SALU_CYCLE_1)
	s_add_i32 s6, s6, s7
	s_lshr_b32 s6, s6, 22
	s_delay_alu instid0(SALU_CYCLE_1) | instskip(NEXT) | instid1(SALU_CYCLE_1)
	s_mul_i32 s7, s6, s8
	s_sub_i32 s0, 0x400, s7
	s_add_i32 s7, s6, 1
	s_sub_i32 s9, s0, s8
	s_cmp_ge_u32 s0, s8
	s_cselect_b32 s6, s7, s6
	s_cselect_b32 s0, s9, s0
	s_add_i32 s7, s6, 1
	s_cmp_ge_u32 s0, s8
	s_cselect_b32 s6, s7, s6
	s_max_u32 s7, s8, 1
	s_add_i32 s6, s6, 1
	s_set_inst_prefetch_distance 0x1
	s_branch .LBB158_2
	.p2align	6
.LBB158_1:                              ;   in Loop: Header=BB158_2 Depth=1
	s_or_b32 exec_lo, exec_lo, s0
	v_dual_sub_f32 v11, v2, v1 :: v_dual_sub_f32 v12, v4, v3
	v_cmp_gt_u32_e64 s0, s1, v8
	s_waitcnt lgkmcnt(0)
	v_sub_f32_e32 v10, v1, v10
	s_add_i32 s7, s7, -1
	s_barrier
	v_cndmask_b32_e64 v11, v2, v11, s0
	v_cmp_gt_u32_e64 s0, s1, v5
	v_sub_f32_e32 v13, v3, v2
	buffer_gl0_inv
	v_add_f32_e32 v2, v2, v11
	v_cndmask_b32_e64 v10, v1, v10, s0
	v_cmp_gt_u32_e64 s0, s1, v7
	s_delay_alu instid0(VALU_DEP_1) | instskip(SKIP_1) | instid1(VALU_DEP_2)
	v_cndmask_b32_e64 v13, v3, v13, s0
	v_cmp_gt_u32_e64 s0, s1, v6
	v_add_f32_e32 v3, v3, v13
	s_delay_alu instid0(VALU_DEP_2) | instskip(SKIP_2) | instid1(SALU_CYCLE_1)
	v_cndmask_b32_e64 v12, v4, v12, s0
	v_add_f32_e32 v1, v1, v10
	s_add_i32 s0, s6, s1
	s_and_b32 s1, s0, 0x3ff
	s_delay_alu instid0(VALU_DEP_2)
	v_add_f32_e32 v4, v4, v12
	s_cmp_lg_u32 s7, 0
	s_cbranch_scc0 .LBB158_4
.LBB158_2:                              ; =>This Inner Loop Header: Depth=1
	v_mov_b32_e32 v10, 0x42f60000
	s_waitcnt vmcnt(0)
	ds_store_b32 v5, v4
	s_waitcnt lgkmcnt(0)
	s_barrier
	buffer_gl0_inv
	s_and_saveexec_b32 s0, vcc_lo
	s_cbranch_execz .LBB158_1
; %bb.3:                                ;   in Loop: Header=BB158_2 Depth=1
	ds_load_b32 v10, v9
	s_branch .LBB158_1
.LBB158_4:
	s_set_inst_prefetch_distance 0x2
	v_lshlrev_b32_e32 v0, 2, v0
	s_add_u32 s0, s4, s2
	s_addc_u32 s1, s5, s3
	s_clause 0x3
	global_store_b32 v0, v1, s[0:1]
	global_store_b32 v0, v2, s[0:1] offset:1024
	global_store_b32 v0, v3, s[0:1] offset:2048
	;; [unrolled: 1-line block ×3, first 2 shown]
	s_nop 0
	s_sendmsg sendmsg(MSG_DEALLOC_VGPRS)
	s_endpgm
	.section	.rodata,"a",@progbits
	.p2align	6, 0x0
	.amdhsa_kernel _Z6kernelI26subtract_left_partial_tileLj256ELj4ELb1EJPfPiS1_jEEvDpT3_
		.amdhsa_group_segment_fixed_size 2048
		.amdhsa_private_segment_fixed_size 0
		.amdhsa_kernarg_size 28
		.amdhsa_user_sgpr_count 15
		.amdhsa_user_sgpr_dispatch_ptr 0
		.amdhsa_user_sgpr_queue_ptr 0
		.amdhsa_user_sgpr_kernarg_segment_ptr 1
		.amdhsa_user_sgpr_dispatch_id 0
		.amdhsa_user_sgpr_private_segment_size 0
		.amdhsa_wavefront_size32 1
		.amdhsa_uses_dynamic_stack 0
		.amdhsa_enable_private_segment 0
		.amdhsa_system_sgpr_workgroup_id_x 1
		.amdhsa_system_sgpr_workgroup_id_y 0
		.amdhsa_system_sgpr_workgroup_id_z 0
		.amdhsa_system_sgpr_workgroup_info 0
		.amdhsa_system_vgpr_workitem_id 0
		.amdhsa_next_free_vgpr 14
		.amdhsa_next_free_sgpr 16
		.amdhsa_reserve_vcc 1
		.amdhsa_float_round_mode_32 0
		.amdhsa_float_round_mode_16_64 0
		.amdhsa_float_denorm_mode_32 3
		.amdhsa_float_denorm_mode_16_64 3
		.amdhsa_dx10_clamp 1
		.amdhsa_ieee_mode 1
		.amdhsa_fp16_overflow 0
		.amdhsa_workgroup_processor_mode 1
		.amdhsa_memory_ordered 1
		.amdhsa_forward_progress 0
		.amdhsa_shared_vgpr_count 0
		.amdhsa_exception_fp_ieee_invalid_op 0
		.amdhsa_exception_fp_denorm_src 0
		.amdhsa_exception_fp_ieee_div_zero 0
		.amdhsa_exception_fp_ieee_overflow 0
		.amdhsa_exception_fp_ieee_underflow 0
		.amdhsa_exception_fp_ieee_inexact 0
		.amdhsa_exception_int_div_zero 0
	.end_amdhsa_kernel
	.section	.text._Z6kernelI26subtract_left_partial_tileLj256ELj4ELb1EJPfPiS1_jEEvDpT3_,"axG",@progbits,_Z6kernelI26subtract_left_partial_tileLj256ELj4ELb1EJPfPiS1_jEEvDpT3_,comdat
.Lfunc_end158:
	.size	_Z6kernelI26subtract_left_partial_tileLj256ELj4ELb1EJPfPiS1_jEEvDpT3_, .Lfunc_end158-_Z6kernelI26subtract_left_partial_tileLj256ELj4ELb1EJPfPiS1_jEEvDpT3_
                                        ; -- End function
	.section	.AMDGPU.csdata,"",@progbits
; Kernel info:
; codeLenInByte = 548
; NumSgprs: 18
; NumVgprs: 14
; ScratchSize: 0
; MemoryBound: 0
; FloatMode: 240
; IeeeMode: 1
; LDSByteSize: 2048 bytes/workgroup (compile time only)
; SGPRBlocks: 2
; VGPRBlocks: 1
; NumSGPRsForWavesPerEU: 18
; NumVGPRsForWavesPerEU: 14
; Occupancy: 16
; WaveLimiterHint : 1
; COMPUTE_PGM_RSRC2:SCRATCH_EN: 0
; COMPUTE_PGM_RSRC2:USER_SGPR: 15
; COMPUTE_PGM_RSRC2:TRAP_HANDLER: 0
; COMPUTE_PGM_RSRC2:TGID_X_EN: 1
; COMPUTE_PGM_RSRC2:TGID_Y_EN: 0
; COMPUTE_PGM_RSRC2:TGID_Z_EN: 0
; COMPUTE_PGM_RSRC2:TIDIG_COMP_CNT: 0
	.section	.text._Z6kernelI26subtract_left_partial_tileLj256ELj8ELb1EJPfPiS1_jEEvDpT3_,"axG",@progbits,_Z6kernelI26subtract_left_partial_tileLj256ELj8ELb1EJPfPiS1_jEEvDpT3_,comdat
	.protected	_Z6kernelI26subtract_left_partial_tileLj256ELj8ELb1EJPfPiS1_jEEvDpT3_ ; -- Begin function _Z6kernelI26subtract_left_partial_tileLj256ELj8ELb1EJPfPiS1_jEEvDpT3_
	.globl	_Z6kernelI26subtract_left_partial_tileLj256ELj8ELb1EJPfPiS1_jEEvDpT3_
	.p2align	8
	.type	_Z6kernelI26subtract_left_partial_tileLj256ELj8ELb1EJPfPiS1_jEEvDpT3_,@function
_Z6kernelI26subtract_left_partial_tileLj256ELj8ELb1EJPfPiS1_jEEvDpT3_: ; @_Z6kernelI26subtract_left_partial_tileLj256ELj8ELb1EJPfPiS1_jEEvDpT3_
; %bb.0:
	s_clause 0x1
	s_load_b128 s[4:7], s[0:1], 0x0
	s_load_b64 s[8:9], s[0:1], 0x10
	s_mov_b32 s13, 0
	s_lshl_b32 s12, s15, 11
	v_lshlrev_b32_e32 v9, 2, v0
	s_lshl_b64 s[2:3], s[12:13], 2
	s_mov_b32 s10, s15
	s_waitcnt lgkmcnt(0)
	s_add_u32 s4, s4, s2
	s_addc_u32 s5, s5, s3
	v_add_co_u32 v1, s11, s4, v9
	s_delay_alu instid0(VALU_DEP_1) | instskip(SKIP_1) | instid1(VALU_DEP_2)
	v_add_co_ci_u32_e64 v2, null, s5, 0, s11
	s_mov_b32 s11, s13
	v_add_co_u32 v10, vcc_lo, 0x1000, v1
	s_delay_alu instid0(VALU_DEP_2)
	v_add_co_ci_u32_e32 v11, vcc_lo, 0, v2, vcc_lo
	s_clause 0x7
	global_load_b32 v1, v9, s[4:5]
	global_load_b32 v2, v9, s[4:5] offset:1024
	global_load_b32 v3, v9, s[4:5] offset:2048
	;; [unrolled: 1-line block ×3, first 2 shown]
	global_load_b32 v5, v[10:11], off
	global_load_b32 v6, v[10:11], off offset:1024
	global_load_b32 v7, v[10:11], off offset:2048
	;; [unrolled: 1-line block ×3, first 2 shown]
	s_load_b32 s5, s[0:1], 0x18
	s_lshl_b64 s[0:1], s[10:11], 2
	v_cmp_ne_u32_e32 vcc_lo, 0, v0
	s_add_u32 s0, s6, s0
	s_addc_u32 s1, s7, s1
	s_load_b32 s1, s[0:1], 0x0
	s_waitcnt lgkmcnt(0)
	v_cvt_f32_u32_e32 v10, s5
	s_sub_i32 s6, 0, s5
	s_delay_alu instid0(VALU_DEP_1) | instskip(SKIP_3) | instid1(VALU_DEP_2)
	v_rcp_iflag_f32_e32 v10, v10
	s_waitcnt_depctr 0xfff
	v_mul_f32_e32 v10, 0x4f7ffffe, v10
	v_add_nc_u32_e32 v18, -4, v9
	v_cvt_u32_f32_e32 v10, v10
	s_delay_alu instid0(VALU_DEP_1) | instskip(SKIP_1) | instid1(VALU_DEP_2)
	v_readfirstlane_b32 s4, v10
	v_lshlrev_b32_e32 v10, 3, v0
	s_mul_i32 s6, s6, s4
	s_delay_alu instid0(VALU_DEP_1)
	v_or_b32_e32 v11, 7, v10
	s_mul_hi_u32 s6, s4, s6
	v_or_b32_e32 v12, 6, v10
	s_add_i32 s4, s4, s6
	v_or_b32_e32 v13, 5, v10
	s_lshr_b32 s4, s4, 21
	v_or_b32_e32 v14, 4, v10
	s_mul_i32 s6, s4, s5
	s_add_i32 s7, s4, 1
	s_sub_i32 s6, 0x800, s6
	v_or_b32_e32 v15, 3, v10
	s_sub_i32 s10, s6, s5
	s_cmp_ge_u32 s6, s5
	v_or_b32_e32 v16, 2, v10
	s_cselect_b32 s0, s7, s4
	s_cselect_b32 s4, s10, s6
	s_add_i32 s6, s0, 1
	s_cmp_ge_u32 s4, s5
	v_or_b32_e32 v17, 1, v10
	s_cselect_b32 s4, s6, s0
	s_max_u32 s5, s5, 1
	s_add_i32 s4, s4, 1
	s_branch .LBB159_2
.LBB159_1:                              ;   in Loop: Header=BB159_2 Depth=1
	s_or_b32 exec_lo, exec_lo, s0
	v_dual_sub_f32 v20, v8, v7 :: v_dual_sub_f32 v21, v7, v6
	v_cmp_gt_u32_e64 s0, s1, v11
	v_dual_sub_f32 v22, v6, v5 :: v_dual_sub_f32 v23, v4, v3
	v_dual_sub_f32 v24, v5, v4 :: v_dual_sub_f32 v25, v2, v1
	s_delay_alu instid0(VALU_DEP_3) | instskip(SKIP_4) | instid1(VALU_DEP_2)
	v_cndmask_b32_e64 v20, v8, v20, s0
	v_cmp_gt_u32_e64 s0, s1, v12
	s_waitcnt lgkmcnt(0)
	v_dual_sub_f32 v19, v1, v19 :: v_dual_sub_f32 v26, v3, v2
	s_add_i32 s5, s5, -1
	v_cndmask_b32_e64 v21, v7, v21, s0
	v_cmp_gt_u32_e64 s0, s1, v13
	v_add_f32_e32 v8, v8, v20
	s_barrier
	buffer_gl0_inv
	v_add_f32_e32 v7, v7, v21
	v_cndmask_b32_e64 v22, v6, v22, s0
	v_cmp_gt_u32_e64 s0, s1, v15
	s_delay_alu instid0(VALU_DEP_2) | instskip(NEXT) | instid1(VALU_DEP_2)
	v_add_f32_e32 v6, v6, v22
	v_cndmask_b32_e64 v23, v4, v23, s0
	v_cmp_gt_u32_e64 s0, s1, v17
	s_delay_alu instid0(VALU_DEP_2) | instskip(NEXT) | instid1(VALU_DEP_2)
	;; [unrolled: 4-line block ×5, first 2 shown]
	v_add_f32_e32 v3, v3, v26
	v_cndmask_b32_e64 v24, v5, v24, s0
	s_add_i32 s0, s4, s1
	s_delay_alu instid0(SALU_CYCLE_1) | instskip(SKIP_1) | instid1(VALU_DEP_1)
	s_and_b32 s1, s0, 0x7ff
	s_cmp_lg_u32 s5, 0
	v_add_f32_e32 v5, v5, v24
	s_cbranch_scc0 .LBB159_4
.LBB159_2:                              ; =>This Inner Loop Header: Depth=1
	v_mov_b32_e32 v19, 0x42f60000
	s_waitcnt vmcnt(0)
	ds_store_b32 v9, v8
	s_waitcnt lgkmcnt(0)
	s_barrier
	buffer_gl0_inv
	s_and_saveexec_b32 s0, vcc_lo
	s_cbranch_execz .LBB159_1
; %bb.3:                                ;   in Loop: Header=BB159_2 Depth=1
	ds_load_b32 v19, v18
	s_branch .LBB159_1
.LBB159_4:
	v_lshlrev_b32_e32 v0, 2, v0
	s_add_u32 s0, s8, s2
	s_addc_u32 s1, s9, s3
	s_delay_alu instid0(VALU_DEP_1) | instskip(NEXT) | instid1(VALU_DEP_1)
	v_add_co_u32 v9, s2, s0, v0
	v_add_co_ci_u32_e64 v10, null, s1, 0, s2
	s_delay_alu instid0(VALU_DEP_2) | instskip(NEXT) | instid1(VALU_DEP_2)
	v_add_co_u32 v9, vcc_lo, 0x1000, v9
	v_add_co_ci_u32_e32 v10, vcc_lo, 0, v10, vcc_lo
	s_clause 0x7
	global_store_b32 v0, v1, s[0:1]
	global_store_b32 v0, v2, s[0:1] offset:1024
	global_store_b32 v0, v3, s[0:1] offset:2048
	;; [unrolled: 1-line block ×3, first 2 shown]
	global_store_b32 v[9:10], v5, off
	global_store_b32 v[9:10], v6, off offset:1024
	global_store_b32 v[9:10], v7, off offset:2048
	;; [unrolled: 1-line block ×3, first 2 shown]
	s_nop 0
	s_sendmsg sendmsg(MSG_DEALLOC_VGPRS)
	s_endpgm
	.section	.rodata,"a",@progbits
	.p2align	6, 0x0
	.amdhsa_kernel _Z6kernelI26subtract_left_partial_tileLj256ELj8ELb1EJPfPiS1_jEEvDpT3_
		.amdhsa_group_segment_fixed_size 2048
		.amdhsa_private_segment_fixed_size 0
		.amdhsa_kernarg_size 28
		.amdhsa_user_sgpr_count 15
		.amdhsa_user_sgpr_dispatch_ptr 0
		.amdhsa_user_sgpr_queue_ptr 0
		.amdhsa_user_sgpr_kernarg_segment_ptr 1
		.amdhsa_user_sgpr_dispatch_id 0
		.amdhsa_user_sgpr_private_segment_size 0
		.amdhsa_wavefront_size32 1
		.amdhsa_uses_dynamic_stack 0
		.amdhsa_enable_private_segment 0
		.amdhsa_system_sgpr_workgroup_id_x 1
		.amdhsa_system_sgpr_workgroup_id_y 0
		.amdhsa_system_sgpr_workgroup_id_z 0
		.amdhsa_system_sgpr_workgroup_info 0
		.amdhsa_system_vgpr_workitem_id 0
		.amdhsa_next_free_vgpr 27
		.amdhsa_next_free_sgpr 16
		.amdhsa_reserve_vcc 1
		.amdhsa_float_round_mode_32 0
		.amdhsa_float_round_mode_16_64 0
		.amdhsa_float_denorm_mode_32 3
		.amdhsa_float_denorm_mode_16_64 3
		.amdhsa_dx10_clamp 1
		.amdhsa_ieee_mode 1
		.amdhsa_fp16_overflow 0
		.amdhsa_workgroup_processor_mode 1
		.amdhsa_memory_ordered 1
		.amdhsa_forward_progress 0
		.amdhsa_shared_vgpr_count 0
		.amdhsa_exception_fp_ieee_invalid_op 0
		.amdhsa_exception_fp_denorm_src 0
		.amdhsa_exception_fp_ieee_div_zero 0
		.amdhsa_exception_fp_ieee_overflow 0
		.amdhsa_exception_fp_ieee_underflow 0
		.amdhsa_exception_fp_ieee_inexact 0
		.amdhsa_exception_int_div_zero 0
	.end_amdhsa_kernel
	.section	.text._Z6kernelI26subtract_left_partial_tileLj256ELj8ELb1EJPfPiS1_jEEvDpT3_,"axG",@progbits,_Z6kernelI26subtract_left_partial_tileLj256ELj8ELb1EJPfPiS1_jEEvDpT3_,comdat
.Lfunc_end159:
	.size	_Z6kernelI26subtract_left_partial_tileLj256ELj8ELb1EJPfPiS1_jEEvDpT3_, .Lfunc_end159-_Z6kernelI26subtract_left_partial_tileLj256ELj8ELb1EJPfPiS1_jEEvDpT3_
                                        ; -- End function
	.section	.AMDGPU.csdata,"",@progbits
; Kernel info:
; codeLenInByte = 804
; NumSgprs: 18
; NumVgprs: 27
; ScratchSize: 0
; MemoryBound: 0
; FloatMode: 240
; IeeeMode: 1
; LDSByteSize: 2048 bytes/workgroup (compile time only)
; SGPRBlocks: 2
; VGPRBlocks: 3
; NumSGPRsForWavesPerEU: 18
; NumVGPRsForWavesPerEU: 27
; Occupancy: 16
; WaveLimiterHint : 1
; COMPUTE_PGM_RSRC2:SCRATCH_EN: 0
; COMPUTE_PGM_RSRC2:USER_SGPR: 15
; COMPUTE_PGM_RSRC2:TRAP_HANDLER: 0
; COMPUTE_PGM_RSRC2:TGID_X_EN: 1
; COMPUTE_PGM_RSRC2:TGID_Y_EN: 0
; COMPUTE_PGM_RSRC2:TGID_Z_EN: 0
; COMPUTE_PGM_RSRC2:TIDIG_COMP_CNT: 0
	.section	.text._Z6kernelI26subtract_left_partial_tileLj256ELj16ELb1EJPfPiS1_jEEvDpT3_,"axG",@progbits,_Z6kernelI26subtract_left_partial_tileLj256ELj16ELb1EJPfPiS1_jEEvDpT3_,comdat
	.protected	_Z6kernelI26subtract_left_partial_tileLj256ELj16ELb1EJPfPiS1_jEEvDpT3_ ; -- Begin function _Z6kernelI26subtract_left_partial_tileLj256ELj16ELb1EJPfPiS1_jEEvDpT3_
	.globl	_Z6kernelI26subtract_left_partial_tileLj256ELj16ELb1EJPfPiS1_jEEvDpT3_
	.p2align	8
	.type	_Z6kernelI26subtract_left_partial_tileLj256ELj16ELb1EJPfPiS1_jEEvDpT3_,@function
_Z6kernelI26subtract_left_partial_tileLj256ELj16ELb1EJPfPiS1_jEEvDpT3_: ; @_Z6kernelI26subtract_left_partial_tileLj256ELj16ELb1EJPfPiS1_jEEvDpT3_
; %bb.0:
	s_clause 0x1
	s_load_b128 s[4:7], s[0:1], 0x0
	s_load_b64 s[8:9], s[0:1], 0x10
	s_mov_b32 s13, 0
	s_lshl_b32 s12, s15, 12
	v_lshlrev_b32_e32 v17, 2, v0
	s_lshl_b64 s[2:3], s[12:13], 2
	s_mov_b32 s10, s15
	s_waitcnt lgkmcnt(0)
	s_add_u32 s4, s4, s2
	s_addc_u32 s5, s5, s3
	v_add_co_u32 v10, s11, s4, v17
	s_delay_alu instid0(VALU_DEP_1)
	v_add_co_ci_u32_e64 v11, null, s5, 0, s11
	s_clause 0x3
	global_load_b32 v4, v17, s[4:5]
	global_load_b32 v3, v17, s[4:5] offset:1024
	global_load_b32 v2, v17, s[4:5] offset:2048
	;; [unrolled: 1-line block ×3, first 2 shown]
	v_add_co_u32 v6, vcc_lo, 0x1000, v10
	v_add_co_ci_u32_e32 v7, vcc_lo, 0, v11, vcc_lo
	v_add_co_u32 v8, vcc_lo, v10, 0x2000
	v_add_co_ci_u32_e32 v9, vcc_lo, 0, v11, vcc_lo
	;; [unrolled: 2-line block ×3, first 2 shown]
	v_add_co_u32 v20, vcc_lo, 0x3000, v10
	s_clause 0x1
	global_load_b32 v5, v[8:9], off offset:-4096
	global_load_b32 v16, v[8:9], off
	v_add_co_ci_u32_e32 v21, vcc_lo, 0, v11, vcc_lo
	s_clause 0x9
	global_load_b32 v15, v[6:7], off offset:1024
	global_load_b32 v14, v[6:7], off offset:2048
	;; [unrolled: 1-line block ×6, first 2 shown]
	global_load_b32 v9, v[20:21], off
	global_load_b32 v8, v[20:21], off offset:1024
	global_load_b32 v7, v[20:21], off offset:2048
	;; [unrolled: 1-line block ×3, first 2 shown]
	s_load_b32 s5, s[0:1], 0x18
	s_mov_b32 s11, s13
	v_cmp_ne_u32_e32 vcc_lo, 0, v0
	s_lshl_b64 s[0:1], s[10:11], 2
	s_delay_alu instid0(SALU_CYCLE_1)
	s_add_u32 s0, s6, s0
	s_addc_u32 s1, s7, s1
	s_load_b32 s1, s[0:1], 0x0
	s_waitcnt lgkmcnt(0)
	v_cvt_f32_u32_e32 v18, s5
	s_sub_i32 s6, 0, s5
	s_delay_alu instid0(VALU_DEP_1) | instskip(SKIP_3) | instid1(VALU_DEP_2)
	v_rcp_iflag_f32_e32 v18, v18
	s_waitcnt_depctr 0xfff
	v_mul_f32_e32 v18, 0x4f7ffffe, v18
	v_add_nc_u32_e32 v34, -4, v17
	v_cvt_u32_f32_e32 v18, v18
	s_delay_alu instid0(VALU_DEP_1) | instskip(SKIP_1) | instid1(VALU_DEP_2)
	v_readfirstlane_b32 s4, v18
	v_lshlrev_b32_e32 v18, 4, v0
	s_mul_i32 s6, s6, s4
	s_delay_alu instid0(VALU_DEP_1)
	v_or_b32_e32 v19, 15, v18
	s_mul_hi_u32 s6, s4, s6
	v_or_b32_e32 v20, 14, v18
	s_add_i32 s4, s4, s6
	v_or_b32_e32 v21, 13, v18
	s_lshr_b32 s4, s4, 20
	v_or_b32_e32 v22, 12, v18
	s_mul_i32 s6, s4, s5
	s_add_i32 s7, s4, 1
	s_sub_i32 s6, 0x1000, s6
	v_or_b32_e32 v23, 11, v18
	s_sub_i32 s10, s6, s5
	s_cmp_ge_u32 s6, s5
	v_or_b32_e32 v24, 10, v18
	s_cselect_b32 s4, s7, s4
	s_cselect_b32 s6, s10, s6
	s_add_i32 s7, s4, 1
	s_cmp_ge_u32 s6, s5
	v_or_b32_e32 v25, 9, v18
	v_or_b32_e32 v26, 8, v18
	;; [unrolled: 1-line block ×9, first 2 shown]
	s_cselect_b32 s4, s7, s4
	s_max_u32 s5, s5, 1
	s_add_i32 s4, s4, 1
	s_branch .LBB160_2
.LBB160_1:                              ;   in Loop: Header=BB160_2 Depth=1
	s_or_b32 exec_lo, exec_lo, s0
	v_dual_sub_f32 v36, v6, v7 :: v_dual_sub_f32 v37, v7, v8
	v_cmp_gt_u32_e64 s0, s1, v19
	v_dual_sub_f32 v38, v8, v9 :: v_dual_sub_f32 v39, v9, v10
	v_dual_sub_f32 v40, v10, v11 :: v_dual_sub_f32 v41, v11, v12
	s_delay_alu instid0(VALU_DEP_3) | instskip(SKIP_3) | instid1(VALU_DEP_3)
	v_cndmask_b32_e64 v36, v6, v36, s0
	v_cmp_gt_u32_e64 s0, s1, v20
	v_dual_sub_f32 v42, v12, v16 :: v_dual_sub_f32 v45, v14, v15
	v_dual_sub_f32 v43, v16, v13 :: v_dual_sub_f32 v44, v13, v14
	v_cndmask_b32_e64 v37, v7, v37, s0
	v_cmp_gt_u32_e64 s0, s1, v21
	v_dual_sub_f32 v46, v15, v5 :: v_dual_sub_f32 v47, v1, v2
	v_dual_sub_f32 v48, v5, v1 :: v_dual_sub_f32 v49, v3, v4
	s_delay_alu instid0(VALU_DEP_3)
	v_cndmask_b32_e64 v38, v8, v38, s0
	v_cmp_gt_u32_e64 s0, s1, v22
	s_waitcnt lgkmcnt(0)
	v_sub_f32_e32 v35, v4, v35
	v_dual_add_f32 v7, v7, v37 :: v_dual_add_f32 v6, v6, v36
	s_add_i32 s5, s5, -1
	v_cndmask_b32_e64 v39, v9, v39, s0
	v_cmp_gt_u32_e64 s0, s1, v23
	v_add_f32_e32 v8, v8, v38
	s_barrier
	s_delay_alu instid0(VALU_DEP_3) | instskip(NEXT) | instid1(VALU_DEP_3)
	v_add_f32_e32 v9, v9, v39
	v_cndmask_b32_e64 v40, v10, v40, s0
	v_cmp_gt_u32_e64 s0, s1, v24
	buffer_gl0_inv
	v_add_f32_e32 v10, v10, v40
	v_cndmask_b32_e64 v41, v11, v41, s0
	v_cmp_gt_u32_e64 s0, s1, v25
	s_delay_alu instid0(VALU_DEP_2) | instskip(NEXT) | instid1(VALU_DEP_2)
	v_add_f32_e32 v11, v11, v41
	v_cndmask_b32_e64 v42, v12, v42, s0
	v_cmp_gt_u32_e64 s0, s1, v26
	s_delay_alu instid0(VALU_DEP_2) | instskip(NEXT) | instid1(VALU_DEP_2)
	;; [unrolled: 4-line block ×8, first 2 shown]
	v_dual_sub_f32 v50, v2, v3 :: v_dual_add_f32 v3, v3, v49
	v_cndmask_b32_e64 v35, v4, v35, s0
	v_cmp_gt_u32_e64 s0, s1, v32
	s_delay_alu instid0(VALU_DEP_1) | instskip(SKIP_1) | instid1(VALU_DEP_2)
	v_cndmask_b32_e64 v50, v2, v50, s0
	v_cmp_gt_u32_e64 s0, s1, v30
	v_add_f32_e32 v2, v2, v50
	s_delay_alu instid0(VALU_DEP_2) | instskip(SKIP_2) | instid1(SALU_CYCLE_1)
	v_cndmask_b32_e64 v48, v5, v48, s0
	v_add_f32_e32 v4, v4, v35
	s_add_i32 s0, s4, s1
	s_and_b32 s1, s0, 0xfff
	s_delay_alu instid0(VALU_DEP_2)
	v_add_f32_e32 v5, v5, v48
	s_cmp_lg_u32 s5, 0
	s_cbranch_scc0 .LBB160_4
.LBB160_2:                              ; =>This Inner Loop Header: Depth=1
	v_mov_b32_e32 v35, 0x42f60000
	s_waitcnt vmcnt(0)
	ds_store_b32 v17, v6
	s_waitcnt lgkmcnt(0)
	s_barrier
	buffer_gl0_inv
	s_and_saveexec_b32 s0, vcc_lo
	s_cbranch_execz .LBB160_1
; %bb.3:                                ;   in Loop: Header=BB160_2 Depth=1
	ds_load_b32 v35, v34
	s_branch .LBB160_1
.LBB160_4:
	v_lshlrev_b32_e32 v0, 2, v0
	s_add_u32 s0, s8, s2
	s_addc_u32 s1, s9, s3
	s_delay_alu instid0(VALU_DEP_1) | instskip(NEXT) | instid1(VALU_DEP_1)
	v_add_co_u32 v23, s2, s0, v0
	v_add_co_ci_u32_e64 v24, null, s1, 0, s2
	s_delay_alu instid0(VALU_DEP_2) | instskip(NEXT) | instid1(VALU_DEP_2)
	v_add_co_u32 v17, vcc_lo, 0x1000, v23
	v_add_co_ci_u32_e32 v18, vcc_lo, 0, v24, vcc_lo
	v_add_co_u32 v19, vcc_lo, v23, 0x2000
	v_add_co_ci_u32_e32 v20, vcc_lo, 0, v24, vcc_lo
	;; [unrolled: 2-line block ×3, first 2 shown]
	v_add_co_u32 v23, vcc_lo, 0x3000, v23
	global_store_b32 v[19:20], v16, off
	v_add_co_ci_u32_e32 v24, vcc_lo, 0, v24, vcc_lo
	s_clause 0xe
	global_store_b32 v0, v4, s[0:1]
	global_store_b32 v0, v3, s[0:1] offset:1024
	global_store_b32 v0, v2, s[0:1] offset:2048
	;; [unrolled: 1-line block ×3, first 2 shown]
	global_store_b32 v[17:18], v15, off offset:1024
	global_store_b32 v[17:18], v14, off offset:2048
	;; [unrolled: 1-line block ×6, first 2 shown]
	global_store_b32 v[23:24], v9, off
	global_store_b32 v[23:24], v8, off offset:1024
	global_store_b32 v[23:24], v7, off offset:2048
	global_store_b32 v[19:20], v5, off offset:-4096
	global_store_b32 v[23:24], v6, off offset:3072
	s_nop 0
	s_sendmsg sendmsg(MSG_DEALLOC_VGPRS)
	s_endpgm
	.section	.rodata,"a",@progbits
	.p2align	6, 0x0
	.amdhsa_kernel _Z6kernelI26subtract_left_partial_tileLj256ELj16ELb1EJPfPiS1_jEEvDpT3_
		.amdhsa_group_segment_fixed_size 2048
		.amdhsa_private_segment_fixed_size 0
		.amdhsa_kernarg_size 28
		.amdhsa_user_sgpr_count 15
		.amdhsa_user_sgpr_dispatch_ptr 0
		.amdhsa_user_sgpr_queue_ptr 0
		.amdhsa_user_sgpr_kernarg_segment_ptr 1
		.amdhsa_user_sgpr_dispatch_id 0
		.amdhsa_user_sgpr_private_segment_size 0
		.amdhsa_wavefront_size32 1
		.amdhsa_uses_dynamic_stack 0
		.amdhsa_enable_private_segment 0
		.amdhsa_system_sgpr_workgroup_id_x 1
		.amdhsa_system_sgpr_workgroup_id_y 0
		.amdhsa_system_sgpr_workgroup_id_z 0
		.amdhsa_system_sgpr_workgroup_info 0
		.amdhsa_system_vgpr_workitem_id 0
		.amdhsa_next_free_vgpr 51
		.amdhsa_next_free_sgpr 16
		.amdhsa_reserve_vcc 1
		.amdhsa_float_round_mode_32 0
		.amdhsa_float_round_mode_16_64 0
		.amdhsa_float_denorm_mode_32 3
		.amdhsa_float_denorm_mode_16_64 3
		.amdhsa_dx10_clamp 1
		.amdhsa_ieee_mode 1
		.amdhsa_fp16_overflow 0
		.amdhsa_workgroup_processor_mode 1
		.amdhsa_memory_ordered 1
		.amdhsa_forward_progress 0
		.amdhsa_shared_vgpr_count 0
		.amdhsa_exception_fp_ieee_invalid_op 0
		.amdhsa_exception_fp_denorm_src 0
		.amdhsa_exception_fp_ieee_div_zero 0
		.amdhsa_exception_fp_ieee_overflow 0
		.amdhsa_exception_fp_ieee_underflow 0
		.amdhsa_exception_fp_ieee_inexact 0
		.amdhsa_exception_int_div_zero 0
	.end_amdhsa_kernel
	.section	.text._Z6kernelI26subtract_left_partial_tileLj256ELj16ELb1EJPfPiS1_jEEvDpT3_,"axG",@progbits,_Z6kernelI26subtract_left_partial_tileLj256ELj16ELb1EJPfPiS1_jEEvDpT3_,comdat
.Lfunc_end160:
	.size	_Z6kernelI26subtract_left_partial_tileLj256ELj16ELb1EJPfPiS1_jEEvDpT3_, .Lfunc_end160-_Z6kernelI26subtract_left_partial_tileLj256ELj16ELb1EJPfPiS1_jEEvDpT3_
                                        ; -- End function
	.section	.AMDGPU.csdata,"",@progbits
; Kernel info:
; codeLenInByte = 1288
; NumSgprs: 18
; NumVgprs: 51
; ScratchSize: 0
; MemoryBound: 0
; FloatMode: 240
; IeeeMode: 1
; LDSByteSize: 2048 bytes/workgroup (compile time only)
; SGPRBlocks: 2
; VGPRBlocks: 6
; NumSGPRsForWavesPerEU: 18
; NumVGPRsForWavesPerEU: 51
; Occupancy: 16
; WaveLimiterHint : 1
; COMPUTE_PGM_RSRC2:SCRATCH_EN: 0
; COMPUTE_PGM_RSRC2:USER_SGPR: 15
; COMPUTE_PGM_RSRC2:TRAP_HANDLER: 0
; COMPUTE_PGM_RSRC2:TGID_X_EN: 1
; COMPUTE_PGM_RSRC2:TGID_Y_EN: 0
; COMPUTE_PGM_RSRC2:TGID_Z_EN: 0
; COMPUTE_PGM_RSRC2:TIDIG_COMP_CNT: 0
	.section	.text._Z6kernelI26subtract_left_partial_tileLj256ELj32ELb1EJPfPiS1_jEEvDpT3_,"axG",@progbits,_Z6kernelI26subtract_left_partial_tileLj256ELj32ELb1EJPfPiS1_jEEvDpT3_,comdat
	.protected	_Z6kernelI26subtract_left_partial_tileLj256ELj32ELb1EJPfPiS1_jEEvDpT3_ ; -- Begin function _Z6kernelI26subtract_left_partial_tileLj256ELj32ELb1EJPfPiS1_jEEvDpT3_
	.globl	_Z6kernelI26subtract_left_partial_tileLj256ELj32ELb1EJPfPiS1_jEEvDpT3_
	.p2align	8
	.type	_Z6kernelI26subtract_left_partial_tileLj256ELj32ELb1EJPfPiS1_jEEvDpT3_,@function
_Z6kernelI26subtract_left_partial_tileLj256ELj32ELb1EJPfPiS1_jEEvDpT3_: ; @_Z6kernelI26subtract_left_partial_tileLj256ELj32ELb1EJPfPiS1_jEEvDpT3_
; %bb.0:
	s_clause 0x1
	s_load_b128 s[4:7], s[0:1], 0x0
	s_load_b64 s[8:9], s[0:1], 0x10
	s_mov_b32 s13, 0
	s_lshl_b32 s12, s15, 13
	v_lshlrev_b32_e32 v25, 2, v0
	s_lshl_b64 s[2:3], s[12:13], 2
	s_mov_b32 s10, s15
	s_waitcnt lgkmcnt(0)
	s_add_u32 s4, s4, s2
	s_addc_u32 s5, s5, s3
	v_add_co_u32 v30, s11, s4, v25
	s_delay_alu instid0(VALU_DEP_1)
	v_add_co_ci_u32_e64 v31, null, s5, 0, s11
	s_clause 0x3
	global_load_b32 v5, v25, s[4:5]
	global_load_b32 v4, v25, s[4:5] offset:1024
	global_load_b32 v3, v25, s[4:5] offset:2048
	;; [unrolled: 1-line block ×3, first 2 shown]
	v_add_co_u32 v6, vcc_lo, 0x1000, v30
	v_add_co_ci_u32_e32 v7, vcc_lo, 0, v31, vcc_lo
	v_add_co_u32 v10, vcc_lo, v30, 0x2000
	v_add_co_ci_u32_e32 v11, vcc_lo, 0, v31, vcc_lo
	;; [unrolled: 2-line block ×9, first 2 shown]
	v_add_co_u32 v36, vcc_lo, 0x7000, v30
	s_clause 0xd
	global_load_b32 v29, v[6:7], off offset:1024
	global_load_b32 v28, v[6:7], off offset:2048
	;; [unrolled: 1-line block ×8, first 2 shown]
	global_load_b32 v1, v[10:11], off offset:-4096
	global_load_b32 v14, v[10:11], off
	global_load_b32 v13, v[17:18], off offset:-4096
	global_load_b32 v12, v[17:18], off
	;; [unrolled: 2-line block ×3, first 2 shown]
	v_add_co_ci_u32_e32 v37, vcc_lo, 0, v31, vcc_lo
	s_clause 0xd
	global_load_b32 v33, v[15:16], off offset:3072
	global_load_b32 v32, v[19:20], off offset:1024
	;; [unrolled: 1-line block ×10, first 2 shown]
	global_load_b32 v18, v[36:37], off
	global_load_b32 v17, v[36:37], off offset:1024
	global_load_b32 v16, v[36:37], off offset:2048
	;; [unrolled: 1-line block ×3, first 2 shown]
	s_load_b32 s5, s[0:1], 0x18
	s_mov_b32 s11, s13
	v_cmp_ne_u32_e32 vcc_lo, 0, v0
	s_lshl_b64 s[0:1], s[10:11], 2
	s_delay_alu instid0(SALU_CYCLE_1)
	s_add_u32 s0, s6, s0
	s_addc_u32 s1, s7, s1
	s_load_b32 s1, s[0:1], 0x0
	s_waitcnt lgkmcnt(0)
	v_cvt_f32_u32_e32 v34, s5
	s_sub_i32 s6, 0, s5
	s_delay_alu instid0(VALU_DEP_1) | instskip(SKIP_3) | instid1(VALU_DEP_2)
	v_rcp_iflag_f32_e32 v34, v34
	s_waitcnt_depctr 0xfff
	v_mul_f32_e32 v34, 0x4f7ffffe, v34
	v_add_nc_u32_e32 v66, -4, v25
	v_cvt_u32_f32_e32 v34, v34
	s_delay_alu instid0(VALU_DEP_1) | instskip(SKIP_1) | instid1(VALU_DEP_2)
	v_readfirstlane_b32 s4, v34
	v_lshlrev_b32_e32 v34, 5, v0
	s_mul_i32 s6, s6, s4
	s_delay_alu instid0(VALU_DEP_1)
	v_or_b32_e32 v35, 31, v34
	s_mul_hi_u32 s6, s4, s6
	v_or_b32_e32 v36, 30, v34
	s_add_i32 s4, s4, s6
	v_or_b32_e32 v37, 29, v34
	s_lshr_b32 s4, s4, 19
	v_or_b32_e32 v38, 28, v34
	s_mul_i32 s6, s4, s5
	s_add_i32 s7, s4, 1
	s_sub_i32 s6, 0x2000, s6
	v_or_b32_e32 v39, 27, v34
	s_sub_i32 s10, s6, s5
	s_cmp_ge_u32 s6, s5
	v_or_b32_e32 v40, 26, v34
	s_cselect_b32 s4, s7, s4
	s_cselect_b32 s6, s10, s6
	s_add_i32 s7, s4, 1
	s_cmp_ge_u32 s6, s5
	v_or_b32_e32 v41, 25, v34
	v_or_b32_e32 v42, 24, v34
	;; [unrolled: 1-line block ×25, first 2 shown]
	s_cselect_b32 s4, s7, s4
	s_max_u32 s5, s5, 1
	s_add_i32 s4, s4, 1
	s_branch .LBB161_2
.LBB161_1:                              ;   in Loop: Header=BB161_2 Depth=1
	s_or_b32 exec_lo, exec_lo, s0
	v_dual_sub_f32 v68, v15, v16 :: v_dual_sub_f32 v69, v16, v17
	v_cmp_gt_u32_e64 s0, s1, v35
	v_dual_sub_f32 v70, v17, v18 :: v_dual_sub_f32 v71, v18, v19
	v_dual_sub_f32 v72, v19, v20 :: v_dual_sub_f32 v73, v20, v21
	s_delay_alu instid0(VALU_DEP_3) | instskip(SKIP_3) | instid1(VALU_DEP_3)
	v_cndmask_b32_e64 v68, v15, v68, s0
	v_cmp_gt_u32_e64 s0, s1, v36
	v_dual_sub_f32 v74, v21, v10 :: v_dual_sub_f32 v77, v23, v24
	v_dual_sub_f32 v75, v10, v22 :: v_dual_sub_f32 v78, v24, v11
	v_cndmask_b32_e64 v69, v16, v69, s0
	v_cmp_gt_u32_e64 s0, s1, v37
	v_dual_sub_f32 v76, v22, v23 :: v_dual_sub_f32 v79, v11, v30
	v_dual_sub_f32 v80, v30, v31 :: v_dual_sub_f32 v81, v31, v32
	s_delay_alu instid0(VALU_DEP_3) | instskip(SKIP_3) | instid1(VALU_DEP_3)
	v_cndmask_b32_e64 v70, v17, v70, s0
	v_cmp_gt_u32_e64 s0, s1, v38
	v_dual_sub_f32 v82, v32, v12 :: v_dual_sub_f32 v87, v13, v6
	v_dual_sub_f32 v83, v12, v33 :: v_dual_sub_f32 v84, v33, v8
	v_cndmask_b32_e64 v71, v18, v71, s0
	v_cmp_gt_u32_e64 s0, s1, v39
	v_dual_sub_f32 v85, v8, v9 :: v_dual_sub_f32 v88, v6, v7
	v_dual_sub_f32 v86, v9, v13 :: v_dual_sub_f32 v89, v7, v26
	s_delay_alu instid0(VALU_DEP_3) | instskip(SKIP_4) | instid1(VALU_DEP_3)
	v_cndmask_b32_e64 v72, v19, v72, s0
	v_cmp_gt_u32_e64 s0, s1, v40
	s_waitcnt lgkmcnt(0)
	v_dual_sub_f32 v90, v26, v14 :: v_dual_sub_f32 v67, v5, v67
	v_dual_sub_f32 v91, v27, v28 :: v_dual_sub_f32 v92, v14, v27
	v_cndmask_b32_e64 v73, v20, v73, s0
	v_cmp_gt_u32_e64 s0, s1, v41
	v_dual_sub_f32 v93, v4, v5 :: v_dual_sub_f32 v94, v3, v4
	v_dual_add_f32 v19, v19, v72 :: v_dual_add_f32 v16, v16, v69
	s_delay_alu instid0(VALU_DEP_3) | instskip(SKIP_3) | instid1(VALU_DEP_4)
	v_cndmask_b32_e64 v74, v21, v74, s0
	v_cmp_gt_u32_e64 s0, s1, v42
	v_dual_add_f32 v18, v18, v71 :: v_dual_add_f32 v17, v17, v70
	v_add_f32_e32 v15, v15, v68
	v_add_f32_e32 v21, v21, v74
	s_delay_alu instid0(VALU_DEP_4)
	v_cndmask_b32_e64 v75, v10, v75, s0
	v_cmp_gt_u32_e64 s0, s1, v43
	s_add_i32 s5, s5, -1
	s_barrier
	buffer_gl0_inv
	v_cndmask_b32_e64 v76, v22, v76, s0
	v_cmp_gt_u32_e64 s0, s1, v44
	v_add_f32_e32 v10, v10, v75
	v_add_f32_e32 v20, v20, v73
	s_delay_alu instid0(VALU_DEP_4) | instskip(NEXT) | instid1(VALU_DEP_4)
	v_add_f32_e32 v22, v22, v76
	v_cndmask_b32_e64 v77, v23, v77, s0
	v_cmp_gt_u32_e64 s0, s1, v45
	s_delay_alu instid0(VALU_DEP_2) | instskip(NEXT) | instid1(VALU_DEP_2)
	v_add_f32_e32 v23, v23, v77
	v_cndmask_b32_e64 v78, v24, v78, s0
	v_cmp_gt_u32_e64 s0, s1, v46
	s_delay_alu instid0(VALU_DEP_2) | instskip(NEXT) | instid1(VALU_DEP_2)
	;; [unrolled: 4-line block ×14, first 2 shown]
	v_add_f32_e32 v26, v26, v90
	v_cndmask_b32_e64 v67, v5, v67, s0
	v_cmp_gt_u32_e64 s0, s1, v59
	s_delay_alu instid0(VALU_DEP_1) | instskip(SKIP_1) | instid1(VALU_DEP_2)
	v_cndmask_b32_e64 v91, v27, v91, s0
	v_cmp_gt_u32_e64 s0, s1, v65
	v_add_f32_e32 v27, v27, v91
	s_delay_alu instid0(VALU_DEP_2) | instskip(SKIP_2) | instid1(VALU_DEP_3)
	v_cndmask_b32_e64 v93, v4, v93, s0
	v_cmp_gt_u32_e64 s0, s1, v64
	v_add_f32_e32 v5, v5, v67
	v_dual_sub_f32 v67, v2, v3 :: v_dual_add_f32 v4, v4, v93
	s_delay_alu instid0(VALU_DEP_3) | instskip(SKIP_1) | instid1(VALU_DEP_2)
	v_cndmask_b32_e64 v94, v3, v94, s0
	v_cmp_gt_u32_e64 s0, s1, v63
	v_add_f32_e32 v3, v3, v94
	v_sub_f32_e32 v94, v1, v2
	s_delay_alu instid0(VALU_DEP_3) | instskip(SKIP_2) | instid1(VALU_DEP_3)
	v_cndmask_b32_e64 v67, v2, v67, s0
	v_sub_f32_e32 v93, v29, v1
	v_cmp_gt_u32_e64 s0, s1, v61
	v_dual_add_f32 v2, v2, v67 :: v_dual_sub_f32 v67, v28, v29
	s_delay_alu instid0(VALU_DEP_2) | instskip(SKIP_1) | instid1(VALU_DEP_2)
	v_cndmask_b32_e64 v93, v29, v93, s0
	v_cmp_gt_u32_e64 s0, s1, v62
	v_add_f32_e32 v29, v29, v93
	s_delay_alu instid0(VALU_DEP_2) | instskip(SKIP_1) | instid1(VALU_DEP_2)
	v_cndmask_b32_e64 v94, v1, v94, s0
	v_cmp_gt_u32_e64 s0, s1, v60
	v_add_f32_e32 v1, v1, v94
	s_delay_alu instid0(VALU_DEP_2) | instskip(SKIP_1) | instid1(VALU_DEP_2)
	v_cndmask_b32_e64 v67, v28, v67, s0
	v_cmp_gt_u32_e64 s0, s1, v58
	v_add_f32_e32 v28, v28, v67
	s_delay_alu instid0(VALU_DEP_2) | instskip(SKIP_1) | instid1(SALU_CYCLE_1)
	v_cndmask_b32_e64 v92, v14, v92, s0
	s_add_i32 s0, s4, s1
	s_and_b32 s1, s0, 0x1fff
	s_cmp_lg_u32 s5, 0
	s_delay_alu instid0(VALU_DEP_1)
	v_add_f32_e32 v14, v14, v92
	s_cbranch_scc0 .LBB161_4
.LBB161_2:                              ; =>This Inner Loop Header: Depth=1
	v_mov_b32_e32 v67, 0x42f60000
	s_waitcnt vmcnt(0)
	ds_store_b32 v25, v15
	s_waitcnt lgkmcnt(0)
	s_barrier
	buffer_gl0_inv
	s_and_saveexec_b32 s0, vcc_lo
	s_cbranch_execz .LBB161_1
; %bb.3:                                ;   in Loop: Header=BB161_2 Depth=1
	ds_load_b32 v67, v66
	s_branch .LBB161_1
.LBB161_4:
	v_lshlrev_b32_e32 v0, 2, v0
	s_add_u32 s0, s8, s2
	s_addc_u32 s1, s9, s3
	s_delay_alu instid0(VALU_DEP_1) | instskip(NEXT) | instid1(VALU_DEP_1)
	v_add_co_u32 v40, s2, s0, v0
	v_add_co_ci_u32_e64 v41, null, s1, 0, s2
	s_delay_alu instid0(VALU_DEP_2) | instskip(NEXT) | instid1(VALU_DEP_2)
	v_add_co_u32 v34, vcc_lo, 0x1000, v40
	v_add_co_ci_u32_e32 v35, vcc_lo, 0, v41, vcc_lo
	v_add_co_u32 v36, vcc_lo, v40, 0x2000
	v_add_co_ci_u32_e32 v37, vcc_lo, 0, v41, vcc_lo
	;; [unrolled: 2-line block ×3, first 2 shown]
	s_clause 0x7
	global_store_b32 v0, v5, s[0:1]
	global_store_b32 v0, v4, s[0:1] offset:1024
	global_store_b32 v0, v3, s[0:1] offset:2048
	;; [unrolled: 1-line block ×3, first 2 shown]
	global_store_b32 v[34:35], v29, off offset:1024
	global_store_b32 v[34:35], v28, off offset:2048
	global_store_b32 v[34:35], v27, off offset:3072
	global_store_b32 v[38:39], v26, off offset:1024
	v_add_co_u32 v2, vcc_lo, 0x3000, v40
	v_add_co_ci_u32_e32 v3, vcc_lo, 0, v41, vcc_lo
	v_add_co_u32 v4, vcc_lo, v40, 0x4000
	v_add_co_ci_u32_e32 v5, vcc_lo, 0, v41, vcc_lo
	v_add_co_u32 v25, vcc_lo, 0x4000, v40
	v_add_co_ci_u32_e32 v26, vcc_lo, 0, v41, vcc_lo
	s_clause 0x7
	global_store_b32 v[38:39], v7, off offset:2048
	global_store_b32 v[38:39], v6, off offset:3072
	;; [unrolled: 1-line block ×8, first 2 shown]
	v_add_co_u32 v2, vcc_lo, 0x5000, v40
	v_add_co_ci_u32_e32 v3, vcc_lo, 0, v41, vcc_lo
	v_add_co_u32 v6, vcc_lo, v40, 0x6000
	v_add_co_ci_u32_e32 v7, vcc_lo, 0, v41, vcc_lo
	;; [unrolled: 2-line block ×3, first 2 shown]
	s_clause 0x4
	global_store_b32 v[36:37], v14, off
	global_store_b32 v[4:5], v13, off offset:-4096
	global_store_b32 v[4:5], v12, off
	global_store_b32 v[6:7], v11, off offset:-4096
	global_store_b32 v[6:7], v10, off
	v_add_co_u32 v4, vcc_lo, 0x7000, v40
	v_add_co_ci_u32_e32 v5, vcc_lo, 0, v41, vcc_lo
	s_clause 0xa
	global_store_b32 v[2:3], v24, off offset:1024
	global_store_b32 v[2:3], v23, off offset:2048
	;; [unrolled: 1-line block ×6, first 2 shown]
	global_store_b32 v[4:5], v18, off
	global_store_b32 v[4:5], v17, off offset:1024
	global_store_b32 v[4:5], v16, off offset:2048
	global_store_b32 v[36:37], v1, off offset:-4096
	global_store_b32 v[4:5], v15, off offset:3072
	s_nop 0
	s_sendmsg sendmsg(MSG_DEALLOC_VGPRS)
	s_endpgm
	.section	.rodata,"a",@progbits
	.p2align	6, 0x0
	.amdhsa_kernel _Z6kernelI26subtract_left_partial_tileLj256ELj32ELb1EJPfPiS1_jEEvDpT3_
		.amdhsa_group_segment_fixed_size 2048
		.amdhsa_private_segment_fixed_size 0
		.amdhsa_kernarg_size 28
		.amdhsa_user_sgpr_count 15
		.amdhsa_user_sgpr_dispatch_ptr 0
		.amdhsa_user_sgpr_queue_ptr 0
		.amdhsa_user_sgpr_kernarg_segment_ptr 1
		.amdhsa_user_sgpr_dispatch_id 0
		.amdhsa_user_sgpr_private_segment_size 0
		.amdhsa_wavefront_size32 1
		.amdhsa_uses_dynamic_stack 0
		.amdhsa_enable_private_segment 0
		.amdhsa_system_sgpr_workgroup_id_x 1
		.amdhsa_system_sgpr_workgroup_id_y 0
		.amdhsa_system_sgpr_workgroup_id_z 0
		.amdhsa_system_sgpr_workgroup_info 0
		.amdhsa_system_vgpr_workitem_id 0
		.amdhsa_next_free_vgpr 95
		.amdhsa_next_free_sgpr 16
		.amdhsa_reserve_vcc 1
		.amdhsa_float_round_mode_32 0
		.amdhsa_float_round_mode_16_64 0
		.amdhsa_float_denorm_mode_32 3
		.amdhsa_float_denorm_mode_16_64 3
		.amdhsa_dx10_clamp 1
		.amdhsa_ieee_mode 1
		.amdhsa_fp16_overflow 0
		.amdhsa_workgroup_processor_mode 1
		.amdhsa_memory_ordered 1
		.amdhsa_forward_progress 0
		.amdhsa_shared_vgpr_count 0
		.amdhsa_exception_fp_ieee_invalid_op 0
		.amdhsa_exception_fp_denorm_src 0
		.amdhsa_exception_fp_ieee_div_zero 0
		.amdhsa_exception_fp_ieee_overflow 0
		.amdhsa_exception_fp_ieee_underflow 0
		.amdhsa_exception_fp_ieee_inexact 0
		.amdhsa_exception_int_div_zero 0
	.end_amdhsa_kernel
	.section	.text._Z6kernelI26subtract_left_partial_tileLj256ELj32ELb1EJPfPiS1_jEEvDpT3_,"axG",@progbits,_Z6kernelI26subtract_left_partial_tileLj256ELj32ELb1EJPfPiS1_jEEvDpT3_,comdat
.Lfunc_end161:
	.size	_Z6kernelI26subtract_left_partial_tileLj256ELj32ELb1EJPfPiS1_jEEvDpT3_, .Lfunc_end161-_Z6kernelI26subtract_left_partial_tileLj256ELj32ELb1EJPfPiS1_jEEvDpT3_
                                        ; -- End function
	.section	.AMDGPU.csdata,"",@progbits
; Kernel info:
; codeLenInByte = 2256
; NumSgprs: 18
; NumVgprs: 95
; ScratchSize: 0
; MemoryBound: 0
; FloatMode: 240
; IeeeMode: 1
; LDSByteSize: 2048 bytes/workgroup (compile time only)
; SGPRBlocks: 2
; VGPRBlocks: 11
; NumSGPRsForWavesPerEU: 18
; NumVGPRsForWavesPerEU: 95
; Occupancy: 16
; WaveLimiterHint : 1
; COMPUTE_PGM_RSRC2:SCRATCH_EN: 0
; COMPUTE_PGM_RSRC2:USER_SGPR: 15
; COMPUTE_PGM_RSRC2:TRAP_HANDLER: 0
; COMPUTE_PGM_RSRC2:TGID_X_EN: 1
; COMPUTE_PGM_RSRC2:TGID_Y_EN: 0
; COMPUTE_PGM_RSRC2:TGID_Z_EN: 0
; COMPUTE_PGM_RSRC2:TIDIG_COMP_CNT: 0
	.section	.text._Z6kernelI26subtract_left_partial_tileLj256ELj1ELb1EJPaPiS1_jEEvDpT3_,"axG",@progbits,_Z6kernelI26subtract_left_partial_tileLj256ELj1ELb1EJPaPiS1_jEEvDpT3_,comdat
	.protected	_Z6kernelI26subtract_left_partial_tileLj256ELj1ELb1EJPaPiS1_jEEvDpT3_ ; -- Begin function _Z6kernelI26subtract_left_partial_tileLj256ELj1ELb1EJPaPiS1_jEEvDpT3_
	.globl	_Z6kernelI26subtract_left_partial_tileLj256ELj1ELb1EJPaPiS1_jEEvDpT3_
	.p2align	8
	.type	_Z6kernelI26subtract_left_partial_tileLj256ELj1ELb1EJPaPiS1_jEEvDpT3_,@function
_Z6kernelI26subtract_left_partial_tileLj256ELj1ELb1EJPaPiS1_jEEvDpT3_: ; @_Z6kernelI26subtract_left_partial_tileLj256ELj1ELb1EJPaPiS1_jEEvDpT3_
; %bb.0:
	s_clause 0x1
	s_load_b128 s[8:11], s[0:1], 0x0
	s_load_b64 s[2:3], s[0:1], 0x10
	s_lshl_b32 s4, s15, 8
	s_mov_b32 s6, s15
	s_mov_b32 s7, 0
	v_cmp_ne_u32_e32 vcc_lo, 0, v0
	s_waitcnt lgkmcnt(0)
	s_add_u32 s8, s8, s4
	s_addc_u32 s9, s9, 0
	global_load_u8 v1, v0, s[8:9]
	s_load_b32 s8, s[0:1], 0x18
	s_lshl_b64 s[0:1], s[6:7], 2
	s_delay_alu instid0(SALU_CYCLE_1)
	s_add_u32 s0, s10, s0
	s_addc_u32 s1, s11, s1
	s_load_b32 s1, s[0:1], 0x0
	s_waitcnt lgkmcnt(0)
	v_cvt_f32_u32_e32 v2, s8
	s_sub_i32 s6, 0, s8
	s_delay_alu instid0(VALU_DEP_1) | instskip(SKIP_2) | instid1(VALU_DEP_1)
	v_rcp_iflag_f32_e32 v2, v2
	s_waitcnt_depctr 0xfff
	v_mul_f32_e32 v2, 0x4f7ffffe, v2
	v_cvt_u32_f32_e32 v2, v2
	s_delay_alu instid0(VALU_DEP_1) | instskip(SKIP_1) | instid1(VALU_DEP_2)
	v_readfirstlane_b32 s5, v2
	v_add_nc_u32_e32 v2, -1, v0
	s_mul_i32 s6, s6, s5
	s_delay_alu instid0(SALU_CYCLE_1) | instskip(NEXT) | instid1(SALU_CYCLE_1)
	s_mul_hi_u32 s6, s5, s6
	s_add_i32 s5, s5, s6
	s_delay_alu instid0(SALU_CYCLE_1) | instskip(NEXT) | instid1(SALU_CYCLE_1)
	s_lshr_b32 s5, s5, 24
	s_mul_i32 s0, s5, s8
	s_add_i32 s6, s5, 1
	s_sub_i32 s0, 0x100, s0
	s_delay_alu instid0(SALU_CYCLE_1)
	s_sub_i32 s7, s0, s8
	s_cmp_ge_u32 s0, s8
	s_cselect_b32 s5, s6, s5
	s_cselect_b32 s0, s7, s0
	s_add_i32 s6, s5, 1
	s_cmp_ge_u32 s0, s8
	s_cselect_b32 s5, s6, s5
	s_max_u32 s6, s8, 1
	s_add_i32 s5, s5, 1
	s_set_inst_prefetch_distance 0x1
	s_branch .LBB162_2
	.p2align	6
.LBB162_1:                              ;   in Loop: Header=BB162_2 Depth=1
	s_or_b32 exec_lo, exec_lo, s0
	v_cmp_gt_u32_e64 s0, s1, v0
	v_lshlrev_b16 v1, 1, v1
	s_add_i32 s6, s6, -1
	s_waitcnt lgkmcnt(0)
	s_barrier
	v_cndmask_b32_e64 v3, 0, v3, s0
	s_add_i32 s0, s5, s1
	buffer_gl0_inv
	s_and_b32 s1, s0, 0xff
	s_cmp_lg_u32 s6, 0
	v_sub_nc_u16 v1, v1, v3
	s_cbranch_scc0 .LBB162_4
.LBB162_2:                              ; =>This Inner Loop Header: Depth=1
	v_mov_b32_e32 v3, 0x7b
	s_waitcnt vmcnt(0)
	ds_store_b8 v0, v1
	s_waitcnt lgkmcnt(0)
	s_barrier
	buffer_gl0_inv
	s_and_saveexec_b32 s0, vcc_lo
	s_cbranch_execz .LBB162_1
; %bb.3:                                ;   in Loop: Header=BB162_2 Depth=1
	ds_load_u8 v3, v2
	s_branch .LBB162_1
.LBB162_4:
	s_set_inst_prefetch_distance 0x2
	s_add_u32 s0, s2, s4
	s_addc_u32 s1, s3, 0
	v_add_co_u32 v2, s0, s0, v0
	s_delay_alu instid0(VALU_DEP_1)
	v_add_co_ci_u32_e64 v3, null, s1, 0, s0
	global_store_b8 v[2:3], v1, off
	s_nop 0
	s_sendmsg sendmsg(MSG_DEALLOC_VGPRS)
	s_endpgm
	.section	.rodata,"a",@progbits
	.p2align	6, 0x0
	.amdhsa_kernel _Z6kernelI26subtract_left_partial_tileLj256ELj1ELb1EJPaPiS1_jEEvDpT3_
		.amdhsa_group_segment_fixed_size 512
		.amdhsa_private_segment_fixed_size 0
		.amdhsa_kernarg_size 28
		.amdhsa_user_sgpr_count 15
		.amdhsa_user_sgpr_dispatch_ptr 0
		.amdhsa_user_sgpr_queue_ptr 0
		.amdhsa_user_sgpr_kernarg_segment_ptr 1
		.amdhsa_user_sgpr_dispatch_id 0
		.amdhsa_user_sgpr_private_segment_size 0
		.amdhsa_wavefront_size32 1
		.amdhsa_uses_dynamic_stack 0
		.amdhsa_enable_private_segment 0
		.amdhsa_system_sgpr_workgroup_id_x 1
		.amdhsa_system_sgpr_workgroup_id_y 0
		.amdhsa_system_sgpr_workgroup_id_z 0
		.amdhsa_system_sgpr_workgroup_info 0
		.amdhsa_system_vgpr_workitem_id 0
		.amdhsa_next_free_vgpr 4
		.amdhsa_next_free_sgpr 16
		.amdhsa_reserve_vcc 1
		.amdhsa_float_round_mode_32 0
		.amdhsa_float_round_mode_16_64 0
		.amdhsa_float_denorm_mode_32 3
		.amdhsa_float_denorm_mode_16_64 3
		.amdhsa_dx10_clamp 1
		.amdhsa_ieee_mode 1
		.amdhsa_fp16_overflow 0
		.amdhsa_workgroup_processor_mode 1
		.amdhsa_memory_ordered 1
		.amdhsa_forward_progress 0
		.amdhsa_shared_vgpr_count 0
		.amdhsa_exception_fp_ieee_invalid_op 0
		.amdhsa_exception_fp_denorm_src 0
		.amdhsa_exception_fp_ieee_div_zero 0
		.amdhsa_exception_fp_ieee_overflow 0
		.amdhsa_exception_fp_ieee_underflow 0
		.amdhsa_exception_fp_ieee_inexact 0
		.amdhsa_exception_int_div_zero 0
	.end_amdhsa_kernel
	.section	.text._Z6kernelI26subtract_left_partial_tileLj256ELj1ELb1EJPaPiS1_jEEvDpT3_,"axG",@progbits,_Z6kernelI26subtract_left_partial_tileLj256ELj1ELb1EJPaPiS1_jEEvDpT3_,comdat
.Lfunc_end162:
	.size	_Z6kernelI26subtract_left_partial_tileLj256ELj1ELb1EJPaPiS1_jEEvDpT3_, .Lfunc_end162-_Z6kernelI26subtract_left_partial_tileLj256ELj1ELb1EJPaPiS1_jEEvDpT3_
                                        ; -- End function
	.section	.AMDGPU.csdata,"",@progbits
; Kernel info:
; codeLenInByte = 408
; NumSgprs: 18
; NumVgprs: 4
; ScratchSize: 0
; MemoryBound: 0
; FloatMode: 240
; IeeeMode: 1
; LDSByteSize: 512 bytes/workgroup (compile time only)
; SGPRBlocks: 2
; VGPRBlocks: 0
; NumSGPRsForWavesPerEU: 18
; NumVGPRsForWavesPerEU: 4
; Occupancy: 16
; WaveLimiterHint : 0
; COMPUTE_PGM_RSRC2:SCRATCH_EN: 0
; COMPUTE_PGM_RSRC2:USER_SGPR: 15
; COMPUTE_PGM_RSRC2:TRAP_HANDLER: 0
; COMPUTE_PGM_RSRC2:TGID_X_EN: 1
; COMPUTE_PGM_RSRC2:TGID_Y_EN: 0
; COMPUTE_PGM_RSRC2:TGID_Z_EN: 0
; COMPUTE_PGM_RSRC2:TIDIG_COMP_CNT: 0
	.section	.text._Z6kernelI26subtract_left_partial_tileLj256ELj3ELb1EJPaPiS1_jEEvDpT3_,"axG",@progbits,_Z6kernelI26subtract_left_partial_tileLj256ELj3ELb1EJPaPiS1_jEEvDpT3_,comdat
	.protected	_Z6kernelI26subtract_left_partial_tileLj256ELj3ELb1EJPaPiS1_jEEvDpT3_ ; -- Begin function _Z6kernelI26subtract_left_partial_tileLj256ELj3ELb1EJPaPiS1_jEEvDpT3_
	.globl	_Z6kernelI26subtract_left_partial_tileLj256ELj3ELb1EJPaPiS1_jEEvDpT3_
	.p2align	8
	.type	_Z6kernelI26subtract_left_partial_tileLj256ELj3ELb1EJPaPiS1_jEEvDpT3_,@function
_Z6kernelI26subtract_left_partial_tileLj256ELj3ELb1EJPaPiS1_jEEvDpT3_: ; @_Z6kernelI26subtract_left_partial_tileLj256ELj3ELb1EJPaPiS1_jEEvDpT3_
; %bb.0:
	s_clause 0x1
	s_load_b128 s[8:11], s[0:1], 0x0
	s_load_b64 s[2:3], s[0:1], 0x10
	s_mul_i32 s4, s15, 0x300
	s_mov_b32 s6, s15
	s_mov_b32 s7, 0
	v_mad_u32_u24 v2, v0, 3, 2
	v_cmp_ne_u32_e32 vcc_lo, 0, v0
	s_waitcnt lgkmcnt(0)
	s_add_u32 s8, s8, s4
	s_addc_u32 s9, s9, 0
	s_clause 0x2
	global_load_u8 v3, v0, s[8:9] offset:256
	global_load_u8 v4, v0, s[8:9]
	global_load_u8 v5, v0, s[8:9] offset:512
	s_load_b32 s8, s[0:1], 0x18
	s_lshl_b64 s[0:1], s[6:7], 2
	s_delay_alu instid0(SALU_CYCLE_1)
	s_add_u32 s0, s10, s0
	s_addc_u32 s1, s11, s1
	s_load_b32 s1, s[0:1], 0x0
	s_waitcnt lgkmcnt(0)
	v_cvt_f32_u32_e32 v1, s8
	s_sub_i32 s6, 0, s8
	s_delay_alu instid0(VALU_DEP_1)
	v_rcp_iflag_f32_e32 v1, v1
	s_waitcnt_depctr 0xfff
	v_mul_f32_e32 v1, 0x4f7ffffe, v1
	s_waitcnt vmcnt(2)
	v_lshlrev_b16 v3, 8, v3
	s_waitcnt vmcnt(1)
	s_delay_alu instid0(VALU_DEP_1) | instskip(SKIP_1) | instid1(VALU_DEP_2)
	v_or_b32_e32 v4, v4, v3
	v_mad_u32_u24 v3, v0, 3, 1
	v_and_b32_e32 v4, 0xffff, v4
	s_waitcnt vmcnt(0)
	s_delay_alu instid0(VALU_DEP_1) | instskip(SKIP_2) | instid1(VALU_DEP_1)
	v_lshl_or_b32 v5, v5, 16, v4
	v_add_nc_u32_e32 v4, -1, v0
	v_cvt_u32_f32_e32 v1, v1
	v_readfirstlane_b32 s5, v1
	v_mul_u32_u24_e32 v1, 3, v0
	s_delay_alu instid0(VALU_DEP_2) | instskip(NEXT) | instid1(SALU_CYCLE_1)
	s_mul_i32 s6, s6, s5
	s_mul_hi_u32 s6, s5, s6
	s_delay_alu instid0(SALU_CYCLE_1) | instskip(NEXT) | instid1(SALU_CYCLE_1)
	s_add_i32 s5, s5, s6
	s_mul_hi_u32 s5, s5, 0x300
	s_delay_alu instid0(SALU_CYCLE_1) | instskip(NEXT) | instid1(SALU_CYCLE_1)
	s_mul_i32 s6, s5, s8
	s_sub_i32 s0, 0x300, s6
	s_add_i32 s6, s5, 1
	s_sub_i32 s7, s0, s8
	s_cmp_ge_u32 s0, s8
	s_cselect_b32 s5, s6, s5
	s_cselect_b32 s0, s7, s0
	s_add_i32 s6, s5, 1
	s_cmp_ge_u32 s0, s8
	s_cselect_b32 s5, s6, s5
	s_max_u32 s6, s8, 1
	s_add_i32 s5, s5, 1
	s_branch .LBB163_2
.LBB163_1:                              ;   in Loop: Header=BB163_2 Depth=1
	s_or_b32 exec_lo, exec_lo, s0
	v_lshrrev_b32_e32 v8, 8, v5
	v_and_b32_e32 v11, 0xffffff00, v6
	v_cmp_gt_u32_e64 s0, s1, v3
	v_and_b32_e32 v12, 0xffff0000, v5
	s_add_i32 s6, s6, -1
	v_sub_nc_u16 v9, v6, v8
	v_sub_nc_u16 v10, v8, v5
	s_waitcnt lgkmcnt(0)
	s_barrier
	buffer_gl0_inv
	v_and_b32_e32 v9, 0xff, v9
	v_lshlrev_b16 v10, 8, v10
	s_delay_alu instid0(VALU_DEP_2) | instskip(SKIP_1) | instid1(VALU_DEP_3)
	v_or_b32_e32 v9, v9, v11
	v_and_b32_e32 v11, 0xffff, v5
	v_and_b32_e32 v10, 0xffff, v10
	s_delay_alu instid0(VALU_DEP_3) | instskip(NEXT) | instid1(VALU_DEP_2)
	v_lshlrev_b32_e32 v9, 16, v9
	v_cndmask_b32_e64 v10, v11, v10, s0
	v_cmp_gt_u32_e64 s0, s1, v2
	s_delay_alu instid0(VALU_DEP_1) | instskip(SKIP_1) | instid1(VALU_DEP_2)
	v_cndmask_b32_e64 v9, v12, v9, s0
	v_cmp_gt_u32_e64 s0, s1, v1
	v_or_b32_e32 v10, v10, v9
	s_delay_alu instid0(VALU_DEP_2) | instskip(SKIP_1) | instid1(SALU_CYCLE_1)
	v_cndmask_b32_e64 v7, 0, v7, s0
	s_add_i32 s0, s5, s1
	s_mul_hi_u32 s1, s0, 0xaaaaaaab
	s_delay_alu instid0(VALU_DEP_2) | instskip(NEXT) | instid1(VALU_DEP_2)
	v_lshrrev_b32_e32 v10, 8, v10
	v_sub_nc_u16 v7, v5, v7
	s_lshr_b32 s1, s1, 9
	s_delay_alu instid0(SALU_CYCLE_1) | instskip(NEXT) | instid1(VALU_DEP_2)
	s_mulk_i32 s1, 0x300
	v_add_nc_u16 v8, v10, v8
	s_delay_alu instid0(VALU_DEP_2) | instskip(SKIP_3) | instid1(VALU_DEP_2)
	v_add_nc_u16 v7, v7, v5
	v_lshrrev_b32_e32 v5, 16, v9
	s_sub_i32 s1, s0, s1
	s_cmp_lg_u32 s6, 0
	v_and_b32_e32 v9, 0xff, v7
	s_delay_alu instid0(VALU_DEP_2) | instskip(SKIP_1) | instid1(VALU_DEP_2)
	v_add_nc_u16 v6, v5, v6
	v_lshlrev_b16 v5, 8, v8
	v_and_b32_e32 v10, 0xff, v6
	s_delay_alu instid0(VALU_DEP_2) | instskip(NEXT) | instid1(VALU_DEP_2)
	v_or_b32_e32 v5, v9, v5
	v_lshlrev_b32_e32 v9, 16, v10
	s_delay_alu instid0(VALU_DEP_2) | instskip(NEXT) | instid1(VALU_DEP_1)
	v_and_b32_e32 v5, 0xffff, v5
	v_or_b32_e32 v5, v5, v9
	s_cbranch_scc0 .LBB163_4
.LBB163_2:                              ; =>This Inner Loop Header: Depth=1
	s_delay_alu instid0(VALU_DEP_1)
	v_lshrrev_b32_e32 v6, 16, v5
	v_mov_b32_e32 v7, 0x7b
	ds_store_b8 v0, v6
	s_waitcnt lgkmcnt(0)
	s_barrier
	buffer_gl0_inv
	s_and_saveexec_b32 s0, vcc_lo
	s_cbranch_execz .LBB163_1
; %bb.3:                                ;   in Loop: Header=BB163_2 Depth=1
	ds_load_u8 v7, v4
	s_branch .LBB163_1
.LBB163_4:
	s_add_u32 s0, s2, s4
	s_addc_u32 s1, s3, 0
	v_add_co_u32 v0, s0, s0, v0
	s_delay_alu instid0(VALU_DEP_1)
	v_add_co_ci_u32_e64 v1, null, s1, 0, s0
	s_clause 0x2
	global_store_b8 v[0:1], v7, off
	global_store_b8 v[0:1], v8, off offset:256
	global_store_b8 v[0:1], v6, off offset:512
	s_nop 0
	s_sendmsg sendmsg(MSG_DEALLOC_VGPRS)
	s_endpgm
	.section	.rodata,"a",@progbits
	.p2align	6, 0x0
	.amdhsa_kernel _Z6kernelI26subtract_left_partial_tileLj256ELj3ELb1EJPaPiS1_jEEvDpT3_
		.amdhsa_group_segment_fixed_size 512
		.amdhsa_private_segment_fixed_size 0
		.amdhsa_kernarg_size 28
		.amdhsa_user_sgpr_count 15
		.amdhsa_user_sgpr_dispatch_ptr 0
		.amdhsa_user_sgpr_queue_ptr 0
		.amdhsa_user_sgpr_kernarg_segment_ptr 1
		.amdhsa_user_sgpr_dispatch_id 0
		.amdhsa_user_sgpr_private_segment_size 0
		.amdhsa_wavefront_size32 1
		.amdhsa_uses_dynamic_stack 0
		.amdhsa_enable_private_segment 0
		.amdhsa_system_sgpr_workgroup_id_x 1
		.amdhsa_system_sgpr_workgroup_id_y 0
		.amdhsa_system_sgpr_workgroup_id_z 0
		.amdhsa_system_sgpr_workgroup_info 0
		.amdhsa_system_vgpr_workitem_id 0
		.amdhsa_next_free_vgpr 13
		.amdhsa_next_free_sgpr 16
		.amdhsa_reserve_vcc 1
		.amdhsa_float_round_mode_32 0
		.amdhsa_float_round_mode_16_64 0
		.amdhsa_float_denorm_mode_32 3
		.amdhsa_float_denorm_mode_16_64 3
		.amdhsa_dx10_clamp 1
		.amdhsa_ieee_mode 1
		.amdhsa_fp16_overflow 0
		.amdhsa_workgroup_processor_mode 1
		.amdhsa_memory_ordered 1
		.amdhsa_forward_progress 0
		.amdhsa_shared_vgpr_count 0
		.amdhsa_exception_fp_ieee_invalid_op 0
		.amdhsa_exception_fp_denorm_src 0
		.amdhsa_exception_fp_ieee_div_zero 0
		.amdhsa_exception_fp_ieee_overflow 0
		.amdhsa_exception_fp_ieee_underflow 0
		.amdhsa_exception_fp_ieee_inexact 0
		.amdhsa_exception_int_div_zero 0
	.end_amdhsa_kernel
	.section	.text._Z6kernelI26subtract_left_partial_tileLj256ELj3ELb1EJPaPiS1_jEEvDpT3_,"axG",@progbits,_Z6kernelI26subtract_left_partial_tileLj256ELj3ELb1EJPaPiS1_jEEvDpT3_,comdat
.Lfunc_end163:
	.size	_Z6kernelI26subtract_left_partial_tileLj256ELj3ELb1EJPaPiS1_jEEvDpT3_, .Lfunc_end163-_Z6kernelI26subtract_left_partial_tileLj256ELj3ELb1EJPaPiS1_jEEvDpT3_
                                        ; -- End function
	.section	.AMDGPU.csdata,"",@progbits
; Kernel info:
; codeLenInByte = 748
; NumSgprs: 18
; NumVgprs: 13
; ScratchSize: 0
; MemoryBound: 0
; FloatMode: 240
; IeeeMode: 1
; LDSByteSize: 512 bytes/workgroup (compile time only)
; SGPRBlocks: 2
; VGPRBlocks: 1
; NumSGPRsForWavesPerEU: 18
; NumVGPRsForWavesPerEU: 13
; Occupancy: 16
; WaveLimiterHint : 1
; COMPUTE_PGM_RSRC2:SCRATCH_EN: 0
; COMPUTE_PGM_RSRC2:USER_SGPR: 15
; COMPUTE_PGM_RSRC2:TRAP_HANDLER: 0
; COMPUTE_PGM_RSRC2:TGID_X_EN: 1
; COMPUTE_PGM_RSRC2:TGID_Y_EN: 0
; COMPUTE_PGM_RSRC2:TGID_Z_EN: 0
; COMPUTE_PGM_RSRC2:TIDIG_COMP_CNT: 0
	.section	.text._Z6kernelI26subtract_left_partial_tileLj256ELj4ELb1EJPaPiS1_jEEvDpT3_,"axG",@progbits,_Z6kernelI26subtract_left_partial_tileLj256ELj4ELb1EJPaPiS1_jEEvDpT3_,comdat
	.protected	_Z6kernelI26subtract_left_partial_tileLj256ELj4ELb1EJPaPiS1_jEEvDpT3_ ; -- Begin function _Z6kernelI26subtract_left_partial_tileLj256ELj4ELb1EJPaPiS1_jEEvDpT3_
	.globl	_Z6kernelI26subtract_left_partial_tileLj256ELj4ELb1EJPaPiS1_jEEvDpT3_
	.p2align	8
	.type	_Z6kernelI26subtract_left_partial_tileLj256ELj4ELb1EJPaPiS1_jEEvDpT3_,@function
_Z6kernelI26subtract_left_partial_tileLj256ELj4ELb1EJPaPiS1_jEEvDpT3_: ; @_Z6kernelI26subtract_left_partial_tileLj256ELj4ELb1EJPaPiS1_jEEvDpT3_
; %bb.0:
	s_clause 0x1
	s_load_b128 s[8:11], s[0:1], 0x0
	s_load_b64 s[2:3], s[0:1], 0x10
	s_lshl_b32 s4, s15, 10
	s_mov_b32 s6, s15
	s_mov_b32 s7, 0
	v_cmp_ne_u32_e32 vcc_lo, 0, v0
	s_waitcnt lgkmcnt(0)
	s_add_u32 s8, s8, s4
	s_addc_u32 s9, s9, 0
	s_clause 0x3
	global_load_u8 v3, v0, s[8:9] offset:256
	global_load_u8 v4, v0, s[8:9] offset:768
	global_load_u8 v5, v0, s[8:9]
	global_load_u8 v6, v0, s[8:9] offset:512
	s_load_b32 s8, s[0:1], 0x18
	s_lshl_b64 s[0:1], s[6:7], 2
	s_delay_alu instid0(SALU_CYCLE_1)
	s_add_u32 s0, s10, s0
	s_addc_u32 s1, s11, s1
	s_load_b32 s1, s[0:1], 0x0
	s_waitcnt lgkmcnt(0)
	v_cvt_f32_u32_e32 v1, s8
	s_sub_i32 s6, 0, s8
	s_delay_alu instid0(VALU_DEP_1)
	v_rcp_iflag_f32_e32 v1, v1
	s_waitcnt vmcnt(3)
	v_lshlrev_b16 v3, 8, v3
	s_waitcnt vmcnt(2)
	v_lshlrev_b16 v4, 8, v4
	s_waitcnt vmcnt(1)
	s_delay_alu instid0(VALU_DEP_2) | instskip(SKIP_1) | instid1(VALU_DEP_2)
	v_or_b32_e32 v5, v5, v3
	s_waitcnt vmcnt(0)
	v_or_b32_e32 v4, v6, v4
	s_waitcnt_depctr 0xfff
	v_mul_f32_e32 v1, 0x4f7ffffe, v1
	v_and_b32_e32 v5, 0xffff, v5
	v_lshlrev_b32_e32 v6, 16, v4
	s_delay_alu instid0(VALU_DEP_3) | instskip(NEXT) | instid1(VALU_DEP_2)
	v_cvt_u32_f32_e32 v1, v1
	v_or_b32_e32 v6, v5, v6
	s_delay_alu instid0(VALU_DEP_2) | instskip(SKIP_2) | instid1(VALU_DEP_3)
	v_readfirstlane_b32 s5, v1
	v_lshlrev_b32_e32 v1, 2, v0
	v_add_nc_u32_e32 v5, -1, v0
	s_mul_i32 s6, s6, s5
	s_delay_alu instid0(VALU_DEP_2)
	v_or_b32_e32 v2, 3, v1
	s_mul_hi_u32 s6, s5, s6
	v_or_b32_e32 v3, 2, v1
	s_add_i32 s5, s5, s6
	v_or_b32_e32 v4, 1, v1
	s_lshr_b32 s5, s5, 22
	s_delay_alu instid0(SALU_CYCLE_1) | instskip(NEXT) | instid1(SALU_CYCLE_1)
	s_mul_i32 s6, s5, s8
	s_sub_i32 s0, 0x400, s6
	s_add_i32 s6, s5, 1
	s_sub_i32 s7, s0, s8
	s_cmp_ge_u32 s0, s8
	s_cselect_b32 s5, s6, s5
	s_cselect_b32 s0, s7, s0
	s_add_i32 s6, s5, 1
	s_cmp_ge_u32 s0, s8
	s_cselect_b32 s5, s6, s5
	s_max_u32 s6, s8, 1
	s_add_i32 s5, s5, 1
	s_branch .LBB164_2
.LBB164_1:                              ;   in Loop: Header=BB164_2 Depth=1
	s_or_b32 exec_lo, exec_lo, s0
	v_lshrrev_b32_e32 v9, 16, v6
	v_lshrrev_b32_e32 v11, 8, v6
	v_cmp_gt_u32_e64 s0, s1, v2
	v_and_b32_e32 v15, 0xffff, v6
	s_add_i32 s6, s6, -1
	v_sub_nc_u16 v10, v7, v9
	v_sub_nc_u16 v13, v11, v6
	;; [unrolled: 1-line block ×3, first 2 shown]
	v_and_b32_e32 v14, 0xff, v9
	s_waitcnt lgkmcnt(0)
	v_lshlrev_b16 v10, 8, v10
	v_lshlrev_b16 v13, 8, v13
	v_and_b32_e32 v12, 0xff, v12
	s_barrier
	buffer_gl0_inv
	v_cndmask_b32_e64 v10, v9, v10, s0
	v_and_b32_e32 v13, 0xffff, v13
	v_cmp_gt_u32_e64 s0, s1, v4
	s_delay_alu instid0(VALU_DEP_3) | instskip(NEXT) | instid1(VALU_DEP_2)
	v_and_b32_e32 v10, 0xffffff00, v10
	v_cndmask_b32_e64 v13, v15, v13, s0
	v_cmp_gt_u32_e64 s0, s1, v3
	s_delay_alu instid0(VALU_DEP_3) | instskip(SKIP_1) | instid1(VALU_DEP_1)
	v_or_b32_e32 v12, v12, v10
	v_or_b32_e32 v10, v14, v10
	v_cndmask_b32_e64 v10, v10, v12, s0
	v_cmp_gt_u32_e64 s0, s1, v1
	s_delay_alu instid0(VALU_DEP_2) | instskip(NEXT) | instid1(VALU_DEP_2)
	v_lshl_or_b32 v12, v10, 16, v13
	v_cndmask_b32_e64 v8, 0, v8, s0
	v_bfe_u32 v13, v10, 8, 8
	v_add_nc_u16 v9, v10, v9
	s_add_i32 s0, s5, s1
	v_lshrrev_b32_e32 v12, 8, v12
	v_sub_nc_u16 v8, v6, v8
	v_add_nc_u16 v7, v13, v7
	s_and_b32 s1, s0, 0x3ff
	s_cmp_lg_u32 s6, 0
	v_add_nc_u16 v10, v12, v11
	v_add_nc_u16 v8, v8, v6
	v_and_b32_e32 v11, 0xff, v9
	v_lshlrev_b16 v12, 8, v7
	s_delay_alu instid0(VALU_DEP_4) | instskip(NEXT) | instid1(VALU_DEP_4)
	v_lshlrev_b16 v13, 8, v10
	v_and_b32_e32 v6, 0xff, v8
	s_delay_alu instid0(VALU_DEP_3) | instskip(NEXT) | instid1(VALU_DEP_2)
	v_or_b32_e32 v11, v11, v12
	v_or_b32_e32 v6, v6, v13
	s_delay_alu instid0(VALU_DEP_2) | instskip(NEXT) | instid1(VALU_DEP_2)
	v_lshlrev_b32_e32 v11, 16, v11
	v_and_b32_e32 v6, 0xffff, v6
	s_delay_alu instid0(VALU_DEP_1)
	v_or_b32_e32 v6, v6, v11
	s_cbranch_scc0 .LBB164_4
.LBB164_2:                              ; =>This Inner Loop Header: Depth=1
	s_delay_alu instid0(VALU_DEP_1)
	v_lshrrev_b32_e32 v7, 24, v6
	v_mov_b32_e32 v8, 0x7b
	ds_store_b8 v0, v7
	s_waitcnt lgkmcnt(0)
	s_barrier
	buffer_gl0_inv
	s_and_saveexec_b32 s0, vcc_lo
	s_cbranch_execz .LBB164_1
; %bb.3:                                ;   in Loop: Header=BB164_2 Depth=1
	ds_load_u8 v8, v5
	s_branch .LBB164_1
.LBB164_4:
	s_add_u32 s0, s2, s4
	s_addc_u32 s1, s3, 0
	v_add_co_u32 v0, s0, s0, v0
	s_delay_alu instid0(VALU_DEP_1)
	v_add_co_ci_u32_e64 v1, null, s1, 0, s0
	s_clause 0x3
	global_store_b8 v[0:1], v8, off
	global_store_b8 v[0:1], v10, off offset:256
	global_store_b8 v[0:1], v9, off offset:512
	;; [unrolled: 1-line block ×3, first 2 shown]
	s_nop 0
	s_sendmsg sendmsg(MSG_DEALLOC_VGPRS)
	s_endpgm
	.section	.rodata,"a",@progbits
	.p2align	6, 0x0
	.amdhsa_kernel _Z6kernelI26subtract_left_partial_tileLj256ELj4ELb1EJPaPiS1_jEEvDpT3_
		.amdhsa_group_segment_fixed_size 512
		.amdhsa_private_segment_fixed_size 0
		.amdhsa_kernarg_size 28
		.amdhsa_user_sgpr_count 15
		.amdhsa_user_sgpr_dispatch_ptr 0
		.amdhsa_user_sgpr_queue_ptr 0
		.amdhsa_user_sgpr_kernarg_segment_ptr 1
		.amdhsa_user_sgpr_dispatch_id 0
		.amdhsa_user_sgpr_private_segment_size 0
		.amdhsa_wavefront_size32 1
		.amdhsa_uses_dynamic_stack 0
		.amdhsa_enable_private_segment 0
		.amdhsa_system_sgpr_workgroup_id_x 1
		.amdhsa_system_sgpr_workgroup_id_y 0
		.amdhsa_system_sgpr_workgroup_id_z 0
		.amdhsa_system_sgpr_workgroup_info 0
		.amdhsa_system_vgpr_workitem_id 0
		.amdhsa_next_free_vgpr 16
		.amdhsa_next_free_sgpr 16
		.amdhsa_reserve_vcc 1
		.amdhsa_float_round_mode_32 0
		.amdhsa_float_round_mode_16_64 0
		.amdhsa_float_denorm_mode_32 3
		.amdhsa_float_denorm_mode_16_64 3
		.amdhsa_dx10_clamp 1
		.amdhsa_ieee_mode 1
		.amdhsa_fp16_overflow 0
		.amdhsa_workgroup_processor_mode 1
		.amdhsa_memory_ordered 1
		.amdhsa_forward_progress 0
		.amdhsa_shared_vgpr_count 0
		.amdhsa_exception_fp_ieee_invalid_op 0
		.amdhsa_exception_fp_denorm_src 0
		.amdhsa_exception_fp_ieee_div_zero 0
		.amdhsa_exception_fp_ieee_overflow 0
		.amdhsa_exception_fp_ieee_underflow 0
		.amdhsa_exception_fp_ieee_inexact 0
		.amdhsa_exception_int_div_zero 0
	.end_amdhsa_kernel
	.section	.text._Z6kernelI26subtract_left_partial_tileLj256ELj4ELb1EJPaPiS1_jEEvDpT3_,"axG",@progbits,_Z6kernelI26subtract_left_partial_tileLj256ELj4ELb1EJPaPiS1_jEEvDpT3_,comdat
.Lfunc_end164:
	.size	_Z6kernelI26subtract_left_partial_tileLj256ELj4ELb1EJPaPiS1_jEEvDpT3_, .Lfunc_end164-_Z6kernelI26subtract_left_partial_tileLj256ELj4ELb1EJPaPiS1_jEEvDpT3_
                                        ; -- End function
	.section	.AMDGPU.csdata,"",@progbits
; Kernel info:
; codeLenInByte = 808
; NumSgprs: 18
; NumVgprs: 16
; ScratchSize: 0
; MemoryBound: 0
; FloatMode: 240
; IeeeMode: 1
; LDSByteSize: 512 bytes/workgroup (compile time only)
; SGPRBlocks: 2
; VGPRBlocks: 1
; NumSGPRsForWavesPerEU: 18
; NumVGPRsForWavesPerEU: 16
; Occupancy: 16
; WaveLimiterHint : 1
; COMPUTE_PGM_RSRC2:SCRATCH_EN: 0
; COMPUTE_PGM_RSRC2:USER_SGPR: 15
; COMPUTE_PGM_RSRC2:TRAP_HANDLER: 0
; COMPUTE_PGM_RSRC2:TGID_X_EN: 1
; COMPUTE_PGM_RSRC2:TGID_Y_EN: 0
; COMPUTE_PGM_RSRC2:TGID_Z_EN: 0
; COMPUTE_PGM_RSRC2:TIDIG_COMP_CNT: 0
	.section	.text._Z6kernelI26subtract_left_partial_tileLj256ELj8ELb1EJPaPiS1_jEEvDpT3_,"axG",@progbits,_Z6kernelI26subtract_left_partial_tileLj256ELj8ELb1EJPaPiS1_jEEvDpT3_,comdat
	.protected	_Z6kernelI26subtract_left_partial_tileLj256ELj8ELb1EJPaPiS1_jEEvDpT3_ ; -- Begin function _Z6kernelI26subtract_left_partial_tileLj256ELj8ELb1EJPaPiS1_jEEvDpT3_
	.globl	_Z6kernelI26subtract_left_partial_tileLj256ELj8ELb1EJPaPiS1_jEEvDpT3_
	.p2align	8
	.type	_Z6kernelI26subtract_left_partial_tileLj256ELj8ELb1EJPaPiS1_jEEvDpT3_,@function
_Z6kernelI26subtract_left_partial_tileLj256ELj8ELb1EJPaPiS1_jEEvDpT3_: ; @_Z6kernelI26subtract_left_partial_tileLj256ELj8ELb1EJPaPiS1_jEEvDpT3_
; %bb.0:
	s_clause 0x1
	s_load_b128 s[4:7], s[0:1], 0x0
	s_load_b64 s[2:3], s[0:1], 0x10
	s_lshl_b32 s8, s15, 11
	s_mov_b32 s10, s15
	s_mov_b32 s11, 0
	v_cmp_ne_u32_e32 vcc_lo, 0, v0
                                        ; implicit-def: $vgpr23
                                        ; implicit-def: $vgpr22
                                        ; implicit-def: $vgpr21
                                        ; implicit-def: $vgpr27
                                        ; implicit-def: $vgpr26
	v_add_nc_u32_e32 v4, -1, v0
	s_waitcnt lgkmcnt(0)
	s_add_u32 s4, s4, s8
	s_addc_u32 s5, s5, 0
	s_clause 0x7
	global_load_u8 v1, v0, s[4:5] offset:256
	global_load_u8 v2, v0, s[4:5] offset:768
	;; [unrolled: 1-line block ×4, first 2 shown]
	global_load_u8 v13, v0, s[4:5]
	global_load_u8 v14, v0, s[4:5] offset:512
	global_load_u8 v15, v0, s[4:5] offset:1024
	;; [unrolled: 1-line block ×3, first 2 shown]
	s_load_b32 s4, s[0:1], 0x18
	s_lshl_b64 s[0:1], s[10:11], 2
	s_delay_alu instid0(SALU_CYCLE_1) | instskip(SKIP_4) | instid1(VALU_DEP_1)
	s_add_u32 s0, s6, s0
	s_addc_u32 s1, s7, s1
	s_waitcnt lgkmcnt(0)
	v_cvt_f32_u32_e32 v3, s4
	s_sub_i32 s6, 0, s4
	v_rcp_iflag_f32_e32 v3, v3
	s_waitcnt_depctr 0xfff
	v_mul_f32_e32 v3, 0x4f7ffffe, v3
	s_delay_alu instid0(VALU_DEP_1) | instskip(SKIP_1) | instid1(VALU_DEP_2)
	v_cvt_u32_f32_e32 v5, v3
	v_lshlrev_b32_e32 v3, 3, v0
	v_readfirstlane_b32 s5, v5
	s_delay_alu instid0(VALU_DEP_2)
	v_or_b32_e32 v5, 7, v3
	v_or_b32_e32 v6, 6, v3
	;; [unrolled: 1-line block ×4, first 2 shown]
	s_mul_i32 s6, s6, s5
	v_or_b32_e32 v9, 3, v3
	s_mul_hi_u32 s6, s5, s6
	v_or_b32_e32 v10, 2, v3
	s_add_i32 s5, s5, s6
	s_delay_alu instid0(SALU_CYCLE_1) | instskip(NEXT) | instid1(SALU_CYCLE_1)
	s_lshr_b32 s6, s5, 21
	s_mul_i32 s5, s6, s4
	s_add_i32 s9, s6, 1
	s_sub_i32 s7, 0x800, s5
	s_load_b32 s5, s[0:1], 0x0
	s_sub_i32 s10, s7, s4
	s_cmp_ge_u32 s7, s4
	s_cselect_b32 s0, s9, s6
	s_cselect_b32 s1, s10, s7
	s_add_i32 s6, s0, 1
	s_cmp_ge_u32 s1, s4
	s_cselect_b32 s1, s6, s0
	s_max_u32 s4, s4, 1
	s_add_i32 s1, s1, 1
	s_waitcnt vmcnt(7)
	v_lshlrev_b16 v1, 8, v1
	s_waitcnt vmcnt(6)
	v_lshlrev_b16 v2, 8, v2
	;; [unrolled: 2-line block ×4, first 2 shown]
	s_waitcnt vmcnt(3)
	v_or_b32_e32 v1, v13, v1
	s_waitcnt vmcnt(2)
	v_or_b32_e32 v2, v14, v2
	;; [unrolled: 2-line block ×4, first 2 shown]
                                        ; implicit-def: $vgpr16
                                        ; implicit-def: $vgpr14
                                        ; implicit-def: $vgpr15
	v_and_b32_e32 v1, 0xffff, v1
	v_lshlrev_b32_e32 v2, 16, v2
	v_and_b32_e32 v13, 0xffff, v11
	s_delay_alu instid0(VALU_DEP_4) | instskip(SKIP_1) | instid1(VALU_DEP_4)
	v_lshlrev_b32_e32 v12, 16, v12
	v_or_b32_e32 v11, 1, v3
	v_or_b32_e32 v1, v1, v2
	s_delay_alu instid0(VALU_DEP_3)
	v_or_b32_e32 v2, v13, v12
	s_branch .LBB165_2
.LBB165_1:                              ;   in Loop: Header=BB165_2 Depth=1
	s_or_b32 exec_lo, exec_lo, s0
	v_and_b32_e32 v17, 0xff, v27
	v_lshlrev_b16 v14, 8, v14
	v_and_b32_e32 v18, 0xff, v26
	v_lshlrev_b16 v15, 8, v15
	v_lshrrev_b32_e32 v25, 8, v2
	v_and_b32_e32 v16, 0xff, v16
	v_or_b32_e32 v14, v17, v14
	v_and_b32_e32 v17, 0xff, v23
	v_or_b32_e32 v15, v18, v15
	v_lshrrev_b32_e32 v23, 16, v2
	v_lshlrev_b16 v18, 8, v22
	v_and_b32_e32 v14, 0xffff, v14
	v_lshlrev_b16 v19, 8, v21
	v_lshlrev_b32_e32 v15, 16, v15
	v_sub_nc_u16 v27, v12, v23
	v_or_b32_e32 v17, v17, v18
	v_sub_nc_u16 v18, v25, v2
	v_and_b32_e32 v21, 0xffffff00, v2
	v_or_b32_e32 v20, v14, v15
	v_lshrrev_b64 v[14:15], 24, v[1:2]
	v_and_b32_e32 v15, 0xffffff00, v23
	v_lshlrev_b16 v27, 8, v27
	v_or_b32_e32 v16, v16, v19
	v_lshrrev_b32_e32 v26, 16, v20
	v_lshlrev_b16 v18, 8, v18
	v_cmp_gt_u32_e64 s0, s5, v5
	v_lshrrev_b32_e32 v24, 16, v1
	v_lshrrev_b32_e32 v28, 8, v1
	v_and_b32_e32 v26, 0xff, v26
	v_and_b32_e32 v17, 0xffff, v17
	v_lshlrev_b32_e32 v16, 16, v16
	v_and_b32_e32 v22, 0xff, v2
	v_sub_nc_u16 v29, v28, v1
	v_or_b32_e32 v15, v26, v15
	v_or_b32_e32 v19, v26, v27
	v_and_b32_e32 v27, 0xff, v20
	v_sub_nc_u16 v26, v23, v25
	v_or_b32_e32 v16, v17, v16
	v_lshlrev_b16 v29, 8, v29
	v_cndmask_b32_e64 v15, v15, v19, s0
	v_or_b32_e32 v21, v27, v21
	v_or_b32_e32 v18, v27, v18
	v_and_b32_e32 v26, 0xff, v26
	v_and_b32_e32 v27, 0xff, v23
	;; [unrolled: 1-line block ×5, first 2 shown]
	v_cmp_gt_u32_e64 s0, s5, v7
	v_and_b32_e32 v19, 0xff, v24
	v_or_b32_e32 v26, v26, v15
	v_or_b32_e32 v15, v27, v15
	v_sub_nc_u16 v27, v2, v14
	v_cndmask_b32_e64 v18, v21, v18, s0
	v_cmp_gt_u32_e64 s0, s5, v6
	v_and_b32_e32 v16, 0xff, v16
	s_add_i32 s4, s4, -1
	v_and_b32_e32 v27, 0xff, v27
	v_and_b32_e32 v18, 0xffffff00, v18
	v_cndmask_b32_e64 v26, v15, v26, s0
	v_sub_nc_u16 v15, v14, v24
	v_cmp_gt_u32_e64 s0, s5, v9
	s_waitcnt lgkmcnt(0)
	v_or_b32_e32 v17, v22, v18
	v_lshlrev_b32_e32 v21, 16, v26
	v_lshlrev_b16 v15, 8, v15
	v_and_b32_e32 v22, 0xffffff00, v1
	v_or_b32_e32 v18, v27, v18
	v_and_b32_e32 v17, 0xffff, v17
	v_and_or_b32 v20, 0xffff, v20, v21
	v_cndmask_b32_e64 v15, v24, v15, s0
	v_sub_nc_u16 v21, v24, v28
	v_or_b32_e32 v22, v16, v22
	v_or_b32_e32 v16, v16, v29
	v_cmp_gt_u32_e64 s0, s5, v10
	v_and_b32_e32 v15, 0xffffff00, v15
	v_and_b32_e32 v21, 0xff, v21
	;; [unrolled: 1-line block ×4, first 2 shown]
	s_barrier
	buffer_gl0_inv
	v_or_b32_e32 v21, v21, v15
	v_or_b32_e32 v15, v19, v15
	v_and_b32_e32 v19, 0xffff, v22
	s_delay_alu instid0(VALU_DEP_2) | instskip(SKIP_1) | instid1(VALU_DEP_1)
	v_cndmask_b32_e64 v27, v15, v21, s0
	v_cmp_gt_u32_e64 s0, s5, v11
	v_cndmask_b32_e64 v15, v19, v16, s0
	v_cmp_gt_u32_e64 s0, s5, v8
	s_delay_alu instid0(VALU_DEP_4) | instskip(NEXT) | instid1(VALU_DEP_3)
	v_add_nc_u16 v19, v27, v24
	v_lshl_or_b32 v15, v27, 16, v15
	s_delay_alu instid0(VALU_DEP_3) | instskip(SKIP_2) | instid1(VALU_DEP_4)
	v_cndmask_b32_e64 v29, v17, v18, s0
	v_cmp_gt_u32_e64 s0, s5, v3
	v_and_b32_e32 v27, 0xff, v27
	v_lshrrev_b32_e32 v31, 8, v15
	s_delay_alu instid0(VALU_DEP_4) | instskip(NEXT) | instid1(VALU_DEP_4)
	v_and_or_b32 v16, 0xffff0000, v20, v29
	v_cndmask_b32_e64 v13, 0, v13, s0
	v_add_nc_u16 v20, v29, v2
	v_and_b32_e32 v2, 0xff, v19
	v_add_nc_u16 v18, v31, v28
	v_lshrrev_b64 v[21:22], 24, v[15:16]
	v_sub_nc_u16 v30, v1, v13
	v_bfe_u32 v15, v26, 8, 8
	v_and_b32_e32 v29, 0xff, v29
	s_add_i32 s0, s1, s5
	s_delay_alu instid0(VALU_DEP_4)
	v_add_nc_u16 v13, v21, v14
	v_lshrrev_b32_e32 v14, 8, v16
	v_add_nc_u16 v17, v30, v1
	v_add_nc_u16 v12, v15, v12
	v_lshlrev_b16 v21, 8, v21
	v_lshlrev_b16 v1, 8, v13
	v_add_nc_u16 v24, v14, v25
	v_add_nc_u16 v25, v26, v23
	v_and_b32_e32 v16, 0xff, v17
	v_and_b32_e32 v23, 0xff, v20
	v_or_b32_e32 v1, v2, v1
	v_lshlrev_b16 v2, 8, v18
	v_lshlrev_b16 v22, 8, v24
	v_and_b32_e32 v28, 0xff, v25
	v_lshlrev_b16 v32, 8, v12
	v_lshlrev_b32_e32 v1, 16, v1
	v_or_b32_e32 v2, v16, v2
	v_or_b32_e32 v22, v23, v22
	;; [unrolled: 1-line block ×4, first 2 shown]
	v_lshlrev_b16 v27, 8, v31
	v_and_b32_e32 v2, 0xffff, v2
	v_and_b32_e32 v21, 0xffff, v22
	;; [unrolled: 1-line block ×3, first 2 shown]
	v_lshlrev_b32_e32 v22, 16, v23
	v_lshlrev_b32_e32 v23, 16, v16
	v_and_b32_e32 v28, 0xffff, v27
	v_or_b32_e32 v1, v2, v1
	v_lshlrev_b16 v31, 8, v14
	v_or_b32_e32 v2, v21, v22
	v_lshrrev_b32_e32 v21, 24, v23
	v_or_b32_e32 v22, v28, v23
	v_and_b32_e32 v28, 0xff, v30
	v_lshlrev_b16 v30, 8, v15
	s_and_b32 s5, s0, 0x7ff
	s_cmp_lg_u32 s4, 0
	v_lshrrev_b32_e32 v22, 8, v22
	v_or_b32_e32 v23, v28, v27
	v_or_b32_e32 v26, v26, v30
	;; [unrolled: 1-line block ×3, first 2 shown]
	s_cbranch_scc0 .LBB165_4
.LBB165_2:                              ; =>This Inner Loop Header: Depth=1
	s_delay_alu instid0(VALU_DEP_1)
	v_lshrrev_b32_e32 v12, 24, v2
	v_mov_b32_e32 v13, 0x7b
	ds_store_b8 v0, v12
	s_waitcnt lgkmcnt(0)
	s_barrier
	buffer_gl0_inv
	s_and_saveexec_b32 s0, vcc_lo
	s_cbranch_execz .LBB165_1
; %bb.3:                                ;   in Loop: Header=BB165_2 Depth=1
	ds_load_u8 v13, v4
	s_branch .LBB165_1
.LBB165_4:
	s_add_u32 s0, s2, s8
	s_addc_u32 s1, s3, 0
	v_add_co_u32 v0, s0, s0, v0
	s_delay_alu instid0(VALU_DEP_1)
	v_add_co_ci_u32_e64 v1, null, s1, 0, s0
	s_clause 0x7
	global_store_b8 v[0:1], v17, off
	global_store_b8 v[0:1], v18, off offset:256
	global_store_b8 v[0:1], v19, off offset:512
	;; [unrolled: 1-line block ×7, first 2 shown]
	s_nop 0
	s_sendmsg sendmsg(MSG_DEALLOC_VGPRS)
	s_endpgm
	.section	.rodata,"a",@progbits
	.p2align	6, 0x0
	.amdhsa_kernel _Z6kernelI26subtract_left_partial_tileLj256ELj8ELb1EJPaPiS1_jEEvDpT3_
		.amdhsa_group_segment_fixed_size 512
		.amdhsa_private_segment_fixed_size 0
		.amdhsa_kernarg_size 28
		.amdhsa_user_sgpr_count 15
		.amdhsa_user_sgpr_dispatch_ptr 0
		.amdhsa_user_sgpr_queue_ptr 0
		.amdhsa_user_sgpr_kernarg_segment_ptr 1
		.amdhsa_user_sgpr_dispatch_id 0
		.amdhsa_user_sgpr_private_segment_size 0
		.amdhsa_wavefront_size32 1
		.amdhsa_uses_dynamic_stack 0
		.amdhsa_enable_private_segment 0
		.amdhsa_system_sgpr_workgroup_id_x 1
		.amdhsa_system_sgpr_workgroup_id_y 0
		.amdhsa_system_sgpr_workgroup_id_z 0
		.amdhsa_system_sgpr_workgroup_info 0
		.amdhsa_system_vgpr_workitem_id 0
		.amdhsa_next_free_vgpr 33
		.amdhsa_next_free_sgpr 16
		.amdhsa_reserve_vcc 1
		.amdhsa_float_round_mode_32 0
		.amdhsa_float_round_mode_16_64 0
		.amdhsa_float_denorm_mode_32 3
		.amdhsa_float_denorm_mode_16_64 3
		.amdhsa_dx10_clamp 1
		.amdhsa_ieee_mode 1
		.amdhsa_fp16_overflow 0
		.amdhsa_workgroup_processor_mode 1
		.amdhsa_memory_ordered 1
		.amdhsa_forward_progress 0
		.amdhsa_shared_vgpr_count 0
		.amdhsa_exception_fp_ieee_invalid_op 0
		.amdhsa_exception_fp_denorm_src 0
		.amdhsa_exception_fp_ieee_div_zero 0
		.amdhsa_exception_fp_ieee_overflow 0
		.amdhsa_exception_fp_ieee_underflow 0
		.amdhsa_exception_fp_ieee_inexact 0
		.amdhsa_exception_int_div_zero 0
	.end_amdhsa_kernel
	.section	.text._Z6kernelI26subtract_left_partial_tileLj256ELj8ELb1EJPaPiS1_jEEvDpT3_,"axG",@progbits,_Z6kernelI26subtract_left_partial_tileLj256ELj8ELb1EJPaPiS1_jEEvDpT3_,comdat
.Lfunc_end165:
	.size	_Z6kernelI26subtract_left_partial_tileLj256ELj8ELb1EJPaPiS1_jEEvDpT3_, .Lfunc_end165-_Z6kernelI26subtract_left_partial_tileLj256ELj8ELb1EJPaPiS1_jEEvDpT3_
                                        ; -- End function
	.section	.AMDGPU.csdata,"",@progbits
; Kernel info:
; codeLenInByte = 1576
; NumSgprs: 18
; NumVgprs: 33
; ScratchSize: 0
; MemoryBound: 0
; FloatMode: 240
; IeeeMode: 1
; LDSByteSize: 512 bytes/workgroup (compile time only)
; SGPRBlocks: 2
; VGPRBlocks: 4
; NumSGPRsForWavesPerEU: 18
; NumVGPRsForWavesPerEU: 33
; Occupancy: 16
; WaveLimiterHint : 1
; COMPUTE_PGM_RSRC2:SCRATCH_EN: 0
; COMPUTE_PGM_RSRC2:USER_SGPR: 15
; COMPUTE_PGM_RSRC2:TRAP_HANDLER: 0
; COMPUTE_PGM_RSRC2:TGID_X_EN: 1
; COMPUTE_PGM_RSRC2:TGID_Y_EN: 0
; COMPUTE_PGM_RSRC2:TGID_Z_EN: 0
; COMPUTE_PGM_RSRC2:TIDIG_COMP_CNT: 0
	.section	.text._Z6kernelI26subtract_left_partial_tileLj256ELj16ELb1EJPaPiS1_jEEvDpT3_,"axG",@progbits,_Z6kernelI26subtract_left_partial_tileLj256ELj16ELb1EJPaPiS1_jEEvDpT3_,comdat
	.protected	_Z6kernelI26subtract_left_partial_tileLj256ELj16ELb1EJPaPiS1_jEEvDpT3_ ; -- Begin function _Z6kernelI26subtract_left_partial_tileLj256ELj16ELb1EJPaPiS1_jEEvDpT3_
	.globl	_Z6kernelI26subtract_left_partial_tileLj256ELj16ELb1EJPaPiS1_jEEvDpT3_
	.p2align	8
	.type	_Z6kernelI26subtract_left_partial_tileLj256ELj16ELb1EJPaPiS1_jEEvDpT3_,@function
_Z6kernelI26subtract_left_partial_tileLj256ELj16ELb1EJPaPiS1_jEEvDpT3_: ; @_Z6kernelI26subtract_left_partial_tileLj256ELj16ELb1EJPaPiS1_jEEvDpT3_
; %bb.0:
	s_clause 0x1
	s_load_b128 s[4:7], s[0:1], 0x0
	s_load_b64 s[2:3], s[0:1], 0x10
	s_lshl_b32 s10, s15, 12
	s_mov_b32 s8, s15
	s_mov_b32 s9, 0
	v_cmp_ne_u32_e32 vcc_lo, 0, v0
                                        ; implicit-def: $vgpr49
                                        ; implicit-def: $vgpr44
                                        ; implicit-def: $vgpr42
                                        ; implicit-def: $vgpr43
                                        ; implicit-def: $vgpr48
                                        ; implicit-def: $vgpr47
                                        ; implicit-def: $vgpr46
                                        ; implicit-def: $vgpr45
	s_waitcnt lgkmcnt(0)
	s_add_u32 s4, s4, s10
	s_addc_u32 s5, s5, 0
	s_clause 0xf
	global_load_u8 v1, v0, s[4:5] offset:256
	global_load_u8 v2, v0, s[4:5] offset:768
	;; [unrolled: 1-line block ×8, first 2 shown]
	global_load_u8 v26, v0, s[4:5]
	global_load_u8 v27, v0, s[4:5] offset:512
	global_load_u8 v28, v0, s[4:5] offset:1024
	;; [unrolled: 1-line block ×7, first 2 shown]
	s_load_b32 s5, s[0:1], 0x18
	s_lshl_b64 s[0:1], s[8:9], 2
	s_delay_alu instid0(SALU_CYCLE_1)
	s_add_u32 s0, s6, s0
	s_addc_u32 s1, s7, s1
	s_load_b32 s1, s[0:1], 0x0
	s_waitcnt lgkmcnt(0)
	v_cvt_f32_u32_e32 v5, s5
	s_sub_i32 s6, 0, s5
	s_delay_alu instid0(VALU_DEP_1) | instskip(SKIP_2) | instid1(VALU_DEP_1)
	v_rcp_iflag_f32_e32 v9, v5
	v_add_nc_u32_e32 v6, -1, v0
	v_lshlrev_b32_e32 v5, 4, v0
	v_or_b32_e32 v7, 15, v5
	v_or_b32_e32 v8, 14, v5
	;; [unrolled: 1-line block ×3, first 2 shown]
	s_waitcnt_depctr 0xfff
	v_mul_f32_e32 v13, 0x4f7ffffe, v9
	v_or_b32_e32 v9, 13, v5
	v_or_b32_e32 v11, 11, v5
	;; [unrolled: 1-line block ×4, first 2 shown]
	v_cvt_u32_f32_e32 v16, v13
	v_or_b32_e32 v13, 9, v5
	v_or_b32_e32 v15, 7, v5
	;; [unrolled: 1-line block ×4, first 2 shown]
	v_readfirstlane_b32 s4, v16
	v_or_b32_e32 v16, 6, v5
	v_or_b32_e32 v19, 3, v5
	;; [unrolled: 1-line block ×4, first 2 shown]
	s_mul_i32 s6, s6, s4
	s_delay_alu instid0(SALU_CYCLE_1) | instskip(NEXT) | instid1(SALU_CYCLE_1)
	s_mul_hi_u32 s6, s4, s6
	s_add_i32 s4, s4, s6
	s_delay_alu instid0(SALU_CYCLE_1) | instskip(NEXT) | instid1(SALU_CYCLE_1)
	s_lshr_b32 s4, s4, 20
	s_mul_i32 s6, s4, s5
	s_add_i32 s7, s4, 1
	s_sub_i32 s6, 0x1000, s6
	s_delay_alu instid0(SALU_CYCLE_1)
	s_sub_i32 s8, s6, s5
	s_cmp_ge_u32 s6, s5
	s_cselect_b32 s0, s7, s4
	s_cselect_b32 s4, s8, s6
	s_add_i32 s6, s0, 1
	s_cmp_ge_u32 s4, s5
	s_cselect_b32 s4, s6, s0
	s_max_u32 s5, s5, 1
	s_add_i32 s4, s4, 1
	s_waitcnt vmcnt(15)
	v_lshlrev_b16 v1, 8, v1
	s_waitcnt vmcnt(14)
	v_lshlrev_b16 v2, 8, v2
	;; [unrolled: 2-line block ×8, first 2 shown]
	s_waitcnt vmcnt(7)
	v_or_b32_e32 v1, v26, v1
	s_waitcnt vmcnt(6)
	v_or_b32_e32 v2, v27, v2
	s_waitcnt vmcnt(5)
	v_or_b32_e32 v3, v28, v3
	s_waitcnt vmcnt(4)
	v_or_b32_e32 v4, v29, v4
	s_waitcnt vmcnt(3)
	v_or_b32_e32 v22, v30, v22
	s_waitcnt vmcnt(2)
	v_or_b32_e32 v23, v31, v23
	s_waitcnt vmcnt(1)
	v_or_b32_e32 v24, v32, v24
	s_waitcnt vmcnt(0)
	v_or_b32_e32 v25, v33, v25
	v_and_b32_e32 v1, 0xffff, v1
	v_lshlrev_b32_e32 v2, 16, v2
	v_and_b32_e32 v26, 0xffff, v3
	v_lshlrev_b32_e32 v4, 16, v4
	;; [unrolled: 2-line block ×4, first 2 shown]
	v_or_b32_e32 v3, v1, v2
	v_or_b32_e32 v4, v26, v4
	;; [unrolled: 1-line block ×3, first 2 shown]
                                        ; implicit-def: $vgpr26
                                        ; implicit-def: $vgpr27
	s_delay_alu instid0(VALU_DEP_4)
	v_or_b32_e32 v2, v24, v25
                                        ; implicit-def: $vgpr25
                                        ; implicit-def: $vgpr24
	s_branch .LBB166_2
.LBB166_1:                              ;   in Loop: Header=BB166_2 Depth=1
	s_or_b32 exec_lo, exec_lo, s0
	v_and_b32_e32 v28, 0xff, v49
	v_lshlrev_b16 v29, 8, v44
	v_and_b32_e32 v30, 0xff, v48
	v_lshlrev_b16 v25, 8, v25
	;; [unrolled: 2-line block ×3, first 2 shown]
	v_or_b32_e32 v28, v28, v29
	v_and_b32_e32 v29, 0xff, v46
	v_and_b32_e32 v32, 0xff, v45
	v_lshlrev_b16 v27, 8, v27
	v_lshlrev_b16 v24, 8, v24
	v_and_b32_e32 v33, 0xff, v42
	v_or_b32_e32 v25, v30, v25
	v_or_b32_e32 v26, v29, v26
	;; [unrolled: 1-line block ×4, first 2 shown]
	v_lshlrev_b16 v29, 8, v43
	v_and_b32_e32 v25, 0xffff, v25
	v_and_b32_e32 v26, 0xffff, v26
	v_lshlrev_b32_e32 v27, 16, v27
	v_lshlrev_b32_e32 v24, 16, v24
	v_or_b32_e32 v29, v33, v29
	v_and_b32_e32 v28, 0xffff, v28
	v_lshrrev_b32_e32 v41, 16, v2
	v_or_b32_e32 v26, v26, v27
	v_or_b32_e32 v30, v25, v24
	v_lshlrev_b32_e32 v24, 16, v29
	v_lshrrev_b32_e32 v33, 16, v4
	v_lshrrev_b32_e32 v40, 8, v2
	v_lshrrev_b32_e32 v25, 16, v26
	v_lshrrev_b32_e32 v27, 16, v30
	v_or_b32_e32 v29, v28, v24
	v_sub_nc_u16 v24, v22, v41
	v_and_b32_e32 v28, 0xffffff00, v33
	v_and_b32_e32 v25, 0xff, v25
	;; [unrolled: 1-line block ×4, first 2 shown]
	v_lshlrev_b16 v24, 8, v24
	v_cmp_gt_u32_e64 s0, s1, v7
	v_and_b32_e32 v35, 0xff, v26
	v_and_b32_e32 v36, 0xffffff00, v2
	v_or_b32_e32 v27, v25, v27
	v_or_b32_e32 v24, v25, v24
	;; [unrolled: 1-line block ×3, first 2 shown]
	v_sub_nc_u16 v28, v40, v2
	v_and_b32_e32 v37, 0xff, v41
	v_or_b32_e32 v36, v35, v36
	v_cndmask_b32_e64 v24, v27, v24, s0
	v_sub_nc_u16 v27, v41, v40
	v_lshlrev_b16 v28, 8, v28
	v_cmp_gt_u32_e64 s0, s1, v8
	v_and_b32_e32 v36, 0xffff, v36
	v_and_b32_e32 v24, 0xffffff00, v24
	;; [unrolled: 1-line block ×3, first 2 shown]
	v_or_b32_e32 v28, v35, v28
	v_lshrrev_b32_e32 v39, 16, v1
	v_lshrrev_b32_e32 v44, 8, v1
	v_and_b32_e32 v42, 0xff, v2
	v_or_b32_e32 v38, v27, v24
	v_or_b32_e32 v24, v37, v24
	v_and_b32_e32 v37, 0xffff, v28
	v_lshrrev_b64 v[27:28], 24, v[1:2]
	v_sub_nc_u16 v43, v39, v44
	v_lshrrev_b32_e32 v46, 24, v4
	v_cndmask_b32_e64 v45, v24, v38, s0
	v_cmp_gt_u32_e64 s0, s1, v9
	v_lshrrev_b32_e32 v49, 8, v4
	v_sub_nc_u16 v28, v27, v39
	v_and_b32_e32 v35, 0xff, v33
	v_lshlrev_b32_e32 v38, 16, v45
	v_cndmask_b32_e64 v24, v36, v37, s0
	v_sub_nc_u16 v37, v2, v27
	v_lshlrev_b16 v28, 8, v28
	v_cmp_gt_u32_e64 s0, s1, v11
	v_and_b32_e32 v36, 0xff, v39
	v_and_b32_e32 v24, 0xffffff00, v24
	;; [unrolled: 1-line block ×3, first 2 shown]
	v_and_or_b32 v38, 0xffff, v26, v38
	v_cndmask_b32_e64 v28, v39, v28, s0
	v_cmp_gt_u32_e64 s0, s1, v10
	v_sub_nc_u16 v26, v46, v33
	v_or_b32_e32 v37, v37, v24
	v_or_b32_e32 v24, v42, v24
	v_and_b32_e32 v28, 0xffffff00, v28
	v_and_b32_e32 v42, 0xff, v43
	v_sub_nc_u16 v43, v44, v1
	v_and_b32_e32 v37, 0xffff, v37
	v_and_b32_e32 v24, 0xffff, v24
	v_lshlrev_b16 v26, 8, v26
	v_or_b32_e32 v42, v42, v28
	v_or_b32_e32 v28, v36, v28
	v_and_b32_e32 v36, 0xff, v30
	v_cndmask_b32_e64 v47, v24, v37, s0
	v_cmp_gt_u32_e64 s0, s1, v12
	v_lshlrev_b16 v24, 8, v43
	v_or_b32_e32 v26, v31, v26
	v_sub_nc_u16 v31, v33, v49
	v_and_b32_e32 v37, 0xffffff00, v4
	v_cndmask_b32_e64 v48, v28, v42, s0
	v_cmp_gt_u32_e64 s0, s1, v13
	v_sub_nc_u16 v28, v1, v46
	v_and_b32_e32 v31, 0xff, v31
	v_and_b32_e32 v42, 0xff, v1
	v_or_b32_e32 v37, v36, v37
	v_cndmask_b32_e64 v24, v1, v24, s0
	v_cmp_gt_u32_e64 s0, s1, v15
	v_lshrrev_b32_e32 v32, 16, v3
	v_lshrrev_b32_e32 v51, 8, v3
	v_and_b32_e32 v29, 0xff, v29
	v_and_b32_e32 v24, 0xffffff00, v24
	v_cndmask_b32_e64 v25, v25, v26, s0
	v_and_b32_e32 v26, 0xff, v28
	v_sub_nc_u16 v28, v49, v4
	v_cmp_gt_u32_e64 s0, s1, v16
	v_and_b32_e32 v34, 0xff, v32
	v_and_b32_e32 v25, 0xffffff00, v25
	v_or_b32_e32 v26, v26, v24
	v_lshlrev_b16 v28, 8, v28
	v_and_b32_e32 v43, 0xffffff00, v3
	v_add_nc_u16 v41, v45, v41
	v_or_b32_e32 v31, v31, v25
	v_or_b32_e32 v25, v35, v25
	v_or_b32_e32 v28, v36, v28
	v_or_b32_e32 v35, v42, v24
	v_and_b32_e32 v36, 0xffff, v37
	v_sub_nc_u16 v42, v32, v51
	v_cndmask_b32_e64 v50, v25, v31, s0
	v_lshrrev_b64 v[24:25], 24, v[3:4]
	v_and_b32_e32 v28, 0xffff, v28
	v_cmp_gt_u32_e64 s0, s1, v17
	v_and_b32_e32 v31, 0xffff, v35
	v_and_b32_e32 v35, 0xff, v4
	;; [unrolled: 1-line block ×3, first 2 shown]
	v_sub_nc_u16 v37, v4, v24
	v_cndmask_b32_e64 v25, v36, v28, s0
	v_lshlrev_b32_e32 v28, 16, v50
	v_sub_nc_u16 v36, v24, v32
	v_cmp_gt_u32_e64 s0, s1, v19
	v_add_nc_u16 v33, v50, v33
	v_and_b32_e32 v25, 0xffffff00, v25
	v_and_or_b32 v28, 0xffff, v30, v28
	v_lshlrev_b16 v30, 8, v36
	v_and_b32_e32 v36, 0xff, v37
	v_sub_nc_u16 v37, v51, v3
	v_or_b32_e32 v35, v35, v25
	s_add_i32 s5, s5, -1
	v_cndmask_b32_e64 v30, v32, v30, s0
	v_or_b32_e32 v25, v36, v25
	v_lshlrev_b16 v37, 8, v37
	v_or_b32_e32 v36, v29, v43
	v_cmp_gt_u32_e64 s0, s1, v20
	v_and_b32_e32 v30, 0xffffff00, v30
	v_and_b32_e32 v35, 0xffff, v35
	v_or_b32_e32 v29, v29, v37
	v_and_b32_e32 v25, 0xffff, v25
	s_waitcnt lgkmcnt(0)
	v_or_b32_e32 v37, v42, v30
	v_or_b32_e32 v30, v34, v30
	v_and_b32_e32 v34, 0xffff, v36
	v_and_b32_e32 v29, 0xffff, v29
	s_barrier
	buffer_gl0_inv
	v_cndmask_b32_e64 v52, v30, v37, s0
	v_cmp_gt_u32_e64 s0, s1, v21
	v_and_b32_e32 v30, 0xffff, v26
	v_and_or_b32 v37, 0xffff0000, v38, v47
	s_delay_alu instid0(VALU_DEP_3) | instskip(SKIP_1) | instid1(VALU_DEP_1)
	v_cndmask_b32_e64 v29, v34, v29, s0
	v_cmp_gt_u32_e64 s0, s1, v18
	v_cndmask_b32_e64 v53, v35, v25, s0
	v_cmp_gt_u32_e64 s0, s1, v5
	s_delay_alu instid0(VALU_DEP_4) | instskip(SKIP_1) | instid1(VALU_DEP_4)
	v_lshl_or_b32 v25, v52, 16, v29
	v_add_nc_u16 v29, v52, v32
	v_and_or_b32 v26, 0xffff0000, v28, v53
	s_delay_alu instid0(VALU_DEP_4) | instskip(SKIP_2) | instid1(VALU_DEP_4)
	v_cndmask_b32_e64 v23, 0, v23, s0
	v_cmp_gt_u32_e64 s0, s1, v14
	v_lshrrev_b32_e32 v55, 8, v25
	v_lshrrev_b64 v[42:43], 24, v[25:26]
	s_delay_alu instid0(VALU_DEP_4) | instskip(NEXT) | instid1(VALU_DEP_4)
	v_sub_nc_u16 v54, v3, v23
	v_cndmask_b32_e64 v35, v31, v30, s0
	v_lshrrev_b32_e32 v25, 8, v26
	v_add_nc_u16 v31, v53, v4
	v_add_nc_u16 v28, v55, v51
	;; [unrolled: 1-line block ×3, first 2 shown]
	v_lshl_or_b32 v36, v48, 16, v35
	v_bfe_u32 v24, v50, 8, 8
	v_add_nc_u16 v23, v54, v3
	v_add_nc_u16 v32, v25, v49
	v_add_nc_u16 v35, v35, v1
	v_lshrrev_b64 v[3:4], 24, v[36:37]
	v_lshrrev_b32_e32 v26, 8, v36
	v_add_nc_u16 v34, v24, v46
	v_lshlrev_b16 v1, 8, v30
	v_and_b32_e32 v4, 0xff, v23
	v_lshlrev_b16 v43, 8, v32
	v_add_nc_u16 v36, v26, v44
	v_lshrrev_b32_e32 v26, 8, v37
	v_add_nc_u16 v37, v48, v39
	v_add_nc_u16 v38, v3, v27
	v_bfe_u32 v27, v45, 8, 8
	v_add_nc_u16 v39, v47, v2
	v_and_b32_e32 v2, 0xff, v29
	v_lshlrev_b16 v3, 8, v28
	v_and_b32_e32 v44, 0xff, v31
	v_and_b32_e32 v46, 0xff, v33
	v_lshlrev_b16 v48, 8, v34
	v_add_nc_u16 v40, v26, v40
	v_add_nc_u16 v22, v27, v22
	v_lshlrev_b16 v49, 8, v38
	v_and_b32_e32 v51, 0xff, v37
	v_or_b32_e32 v1, v2, v1
	v_or_b32_e32 v2, v4, v3
	;; [unrolled: 1-line block ×4, first 2 shown]
	v_lshlrev_b16 v42, 8, v42
	v_and_b32_e32 v48, 0xff, v52
	v_or_b32_e32 v43, v51, v49
	v_and_b32_e32 v44, 0xffff, v3
	v_lshlrev_b16 v3, 8, v36
	v_and_b32_e32 v46, 0xff, v35
	v_lshlrev_b16 v49, 8, v40
	v_and_b32_e32 v51, 0xff, v39
	v_and_b32_e32 v52, 0xff, v41
	v_lshlrev_b16 v56, 8, v22
	v_or_b32_e32 v42, v48, v42
	v_lshlrev_b16 v48, 8, v55
	v_or_b32_e32 v3, v46, v3
	v_or_b32_e32 v46, v51, v49
	;; [unrolled: 1-line block ×3, first 2 shown]
	v_lshlrev_b32_e32 v51, 16, v42
	v_and_b32_e32 v52, 0xffff, v48
	v_lshlrev_b32_e32 v1, 16, v1
	v_and_b32_e32 v2, 0xffff, v2
	v_lshlrev_b32_e32 v4, 16, v4
	v_lshlrev_b32_e32 v43, 16, v43
	v_and_b32_e32 v55, 0xffff, v3
	v_and_b32_e32 v46, 0xffff, v46
	v_lshlrev_b32_e32 v49, 16, v49
	v_or_b32_e32 v52, v52, v51
	v_or_b32_e32 v3, v2, v1
	;; [unrolled: 1-line block ×5, first 2 shown]
	v_lshrrev_b32_e32 v43, 24, v51
	v_lshrrev_b32_e32 v44, 8, v52
	v_and_b32_e32 v46, 0xff, v54
	v_and_b32_e32 v50, 0xff, v50
	v_lshlrev_b16 v51, 8, v24
	v_lshlrev_b16 v52, 8, v25
	v_and_b32_e32 v53, 0xff, v53
	v_and_b32_e32 v45, 0xff, v45
	v_lshlrev_b16 v54, 8, v27
	v_lshlrev_b16 v55, 8, v26
	v_and_b32_e32 v56, 0xff, v47
	s_add_i32 s0, s4, s1
	v_or_b32_e32 v49, v46, v48
	v_or_b32_e32 v47, v50, v51
	v_or_b32_e32 v48, v53, v52
	v_or_b32_e32 v45, v45, v54
	v_or_b32_e32 v46, v56, v55
	s_and_b32 s1, s0, 0xfff
	s_cmp_lg_u32 s5, 0
	s_cbranch_scc0 .LBB166_4
.LBB166_2:                              ; =>This Inner Loop Header: Depth=1
	s_delay_alu instid0(VALU_DEP_1)
	v_lshrrev_b32_e32 v22, 24, v2
	v_mov_b32_e32 v23, 0x7b
	ds_store_b8 v0, v22
	s_waitcnt lgkmcnt(0)
	s_barrier
	buffer_gl0_inv
	s_and_saveexec_b32 s0, vcc_lo
	s_cbranch_execz .LBB166_1
; %bb.3:                                ;   in Loop: Header=BB166_2 Depth=1
	ds_load_u8 v23, v6
	s_branch .LBB166_1
.LBB166_4:
	s_add_u32 s0, s2, s10
	s_addc_u32 s1, s3, 0
	v_add_co_u32 v0, s0, s0, v0
	s_delay_alu instid0(VALU_DEP_1)
	v_add_co_ci_u32_e64 v1, null, s1, 0, s0
	s_clause 0xf
	global_store_b8 v[0:1], v23, off
	global_store_b8 v[0:1], v28, off offset:256
	global_store_b8 v[0:1], v29, off offset:512
	;; [unrolled: 1-line block ×15, first 2 shown]
	s_nop 0
	s_sendmsg sendmsg(MSG_DEALLOC_VGPRS)
	s_endpgm
	.section	.rodata,"a",@progbits
	.p2align	6, 0x0
	.amdhsa_kernel _Z6kernelI26subtract_left_partial_tileLj256ELj16ELb1EJPaPiS1_jEEvDpT3_
		.amdhsa_group_segment_fixed_size 512
		.amdhsa_private_segment_fixed_size 0
		.amdhsa_kernarg_size 28
		.amdhsa_user_sgpr_count 15
		.amdhsa_user_sgpr_dispatch_ptr 0
		.amdhsa_user_sgpr_queue_ptr 0
		.amdhsa_user_sgpr_kernarg_segment_ptr 1
		.amdhsa_user_sgpr_dispatch_id 0
		.amdhsa_user_sgpr_private_segment_size 0
		.amdhsa_wavefront_size32 1
		.amdhsa_uses_dynamic_stack 0
		.amdhsa_enable_private_segment 0
		.amdhsa_system_sgpr_workgroup_id_x 1
		.amdhsa_system_sgpr_workgroup_id_y 0
		.amdhsa_system_sgpr_workgroup_id_z 0
		.amdhsa_system_sgpr_workgroup_info 0
		.amdhsa_system_vgpr_workitem_id 0
		.amdhsa_next_free_vgpr 57
		.amdhsa_next_free_sgpr 16
		.amdhsa_reserve_vcc 1
		.amdhsa_float_round_mode_32 0
		.amdhsa_float_round_mode_16_64 0
		.amdhsa_float_denorm_mode_32 3
		.amdhsa_float_denorm_mode_16_64 3
		.amdhsa_dx10_clamp 1
		.amdhsa_ieee_mode 1
		.amdhsa_fp16_overflow 0
		.amdhsa_workgroup_processor_mode 1
		.amdhsa_memory_ordered 1
		.amdhsa_forward_progress 0
		.amdhsa_shared_vgpr_count 0
		.amdhsa_exception_fp_ieee_invalid_op 0
		.amdhsa_exception_fp_denorm_src 0
		.amdhsa_exception_fp_ieee_div_zero 0
		.amdhsa_exception_fp_ieee_overflow 0
		.amdhsa_exception_fp_ieee_underflow 0
		.amdhsa_exception_fp_ieee_inexact 0
		.amdhsa_exception_int_div_zero 0
	.end_amdhsa_kernel
	.section	.text._Z6kernelI26subtract_left_partial_tileLj256ELj16ELb1EJPaPiS1_jEEvDpT3_,"axG",@progbits,_Z6kernelI26subtract_left_partial_tileLj256ELj16ELb1EJPaPiS1_jEEvDpT3_,comdat
.Lfunc_end166:
	.size	_Z6kernelI26subtract_left_partial_tileLj256ELj16ELb1EJPaPiS1_jEEvDpT3_, .Lfunc_end166-_Z6kernelI26subtract_left_partial_tileLj256ELj16ELb1EJPaPiS1_jEEvDpT3_
                                        ; -- End function
	.section	.AMDGPU.csdata,"",@progbits
; Kernel info:
; codeLenInByte = 2656
; NumSgprs: 18
; NumVgprs: 57
; ScratchSize: 0
; MemoryBound: 0
; FloatMode: 240
; IeeeMode: 1
; LDSByteSize: 512 bytes/workgroup (compile time only)
; SGPRBlocks: 2
; VGPRBlocks: 7
; NumSGPRsForWavesPerEU: 18
; NumVGPRsForWavesPerEU: 57
; Occupancy: 16
; WaveLimiterHint : 1
; COMPUTE_PGM_RSRC2:SCRATCH_EN: 0
; COMPUTE_PGM_RSRC2:USER_SGPR: 15
; COMPUTE_PGM_RSRC2:TRAP_HANDLER: 0
; COMPUTE_PGM_RSRC2:TGID_X_EN: 1
; COMPUTE_PGM_RSRC2:TGID_Y_EN: 0
; COMPUTE_PGM_RSRC2:TGID_Z_EN: 0
; COMPUTE_PGM_RSRC2:TIDIG_COMP_CNT: 0
	.section	.text._Z6kernelI26subtract_left_partial_tileLj256ELj32ELb1EJPaPiS1_jEEvDpT3_,"axG",@progbits,_Z6kernelI26subtract_left_partial_tileLj256ELj32ELb1EJPaPiS1_jEEvDpT3_,comdat
	.protected	_Z6kernelI26subtract_left_partial_tileLj256ELj32ELb1EJPaPiS1_jEEvDpT3_ ; -- Begin function _Z6kernelI26subtract_left_partial_tileLj256ELj32ELb1EJPaPiS1_jEEvDpT3_
	.globl	_Z6kernelI26subtract_left_partial_tileLj256ELj32ELb1EJPaPiS1_jEEvDpT3_
	.p2align	8
	.type	_Z6kernelI26subtract_left_partial_tileLj256ELj32ELb1EJPaPiS1_jEEvDpT3_,@function
_Z6kernelI26subtract_left_partial_tileLj256ELj32ELb1EJPaPiS1_jEEvDpT3_: ; @_Z6kernelI26subtract_left_partial_tileLj256ELj32ELb1EJPaPiS1_jEEvDpT3_
; %bb.0:
	s_clause 0x1
	s_load_b128 s[4:7], s[0:1], 0x0
	s_load_b64 s[2:3], s[0:1], 0x10
	s_lshl_b32 s8, s15, 13
	s_mov_b32 s10, s15
	s_mov_b32 s11, 0
	v_add_nc_u32_e32 v65, -1, v0
	s_waitcnt lgkmcnt(0)
	s_add_u32 s4, s4, s8
	s_addc_u32 s5, s5, 0
	v_add_co_u32 v1, s9, s4, v0
	s_delay_alu instid0(VALU_DEP_1)
	v_add_co_ci_u32_e64 v2, null, s5, 0, s9
	s_clause 0x7
	global_load_u8 v31, v0, s[4:5]
	global_load_u8 v30, v0, s[4:5] offset:256
	global_load_u8 v29, v0, s[4:5] offset:512
	;; [unrolled: 1-line block ×7, first 2 shown]
	v_add_co_u32 v32, vcc_lo, 0x1000, v1
	v_add_co_ci_u32_e32 v33, vcc_lo, 0, v2, vcc_lo
	s_clause 0x17
	global_load_u8 v23, v0, s[4:5] offset:2048
	global_load_u8 v22, v0, s[4:5] offset:2304
	;; [unrolled: 1-line block ×8, first 2 shown]
	global_load_u8 v15, v[32:33], off
	global_load_u8 v14, v[32:33], off offset:256
	global_load_u8 v13, v[32:33], off offset:512
	;; [unrolled: 1-line block ×15, first 2 shown]
	s_load_b32 s5, s[0:1], 0x18
	s_lshl_b64 s[0:1], s[10:11], 2
	v_cmp_ne_u32_e32 vcc_lo, 0, v0
	s_add_u32 s0, s6, s0
	s_addc_u32 s1, s7, s1
	s_load_b32 s1, s[0:1], 0x0
	s_waitcnt lgkmcnt(0)
	v_cvt_f32_u32_e32 v33, s5
	s_sub_i32 s6, 0, s5
	s_delay_alu instid0(VALU_DEP_1) | instskip(SKIP_2) | instid1(VALU_DEP_1)
	v_rcp_iflag_f32_e32 v33, v33
	s_waitcnt_depctr 0xfff
	v_mul_f32_e32 v33, 0x4f7ffffe, v33
	v_cvt_u32_f32_e32 v33, v33
	s_delay_alu instid0(VALU_DEP_1) | instskip(SKIP_1) | instid1(VALU_DEP_2)
	v_readfirstlane_b32 s4, v33
	v_lshlrev_b32_e32 v33, 5, v0
	s_mul_i32 s6, s6, s4
	s_delay_alu instid0(VALU_DEP_1)
	v_or_b32_e32 v34, 31, v33
	s_mul_hi_u32 s6, s4, s6
	v_or_b32_e32 v35, 30, v33
	s_add_i32 s4, s4, s6
	v_or_b32_e32 v36, 29, v33
	s_lshr_b32 s4, s4, 19
	v_or_b32_e32 v37, 28, v33
	s_mul_i32 s6, s4, s5
	s_add_i32 s7, s4, 1
	s_sub_i32 s6, 0x2000, s6
	v_or_b32_e32 v38, 27, v33
	s_sub_i32 s9, s6, s5
	s_cmp_ge_u32 s6, s5
	v_or_b32_e32 v39, 26, v33
	s_cselect_b32 s4, s7, s4
	s_cselect_b32 s6, s9, s6
	s_add_i32 s7, s4, 1
	s_cmp_ge_u32 s6, s5
	v_or_b32_e32 v40, 25, v33
	v_or_b32_e32 v41, 24, v33
	;; [unrolled: 1-line block ×25, first 2 shown]
	s_cselect_b32 s4, s7, s4
	s_max_u32 s5, s5, 1
	s_add_i32 s4, s4, 1
	s_branch .LBB167_2
.LBB167_1:                              ;   in Loop: Header=BB167_2 Depth=1
	s_or_b32 exec_lo, exec_lo, s0
	v_cmp_gt_u32_e64 s0, s1, v34
	s_add_i32 s5, s5, -1
	s_waitcnt lgkmcnt(0)
	s_barrier
	buffer_gl0_inv
	v_cndmask_b32_e64 v67, 0, v1, s0
	v_cmp_gt_u32_e64 s0, s1, v35
	s_delay_alu instid0(VALU_DEP_2) | instskip(NEXT) | instid1(VALU_DEP_2)
	v_sub_nc_u16 v67, v32, v67
	v_cndmask_b32_e64 v68, 0, v2, s0
	v_cmp_gt_u32_e64 s0, s1, v36
	s_delay_alu instid0(VALU_DEP_3) | instskip(NEXT) | instid1(VALU_DEP_3)
	v_add_nc_u16 v32, v67, v32
	v_sub_nc_u16 v68, v1, v68
	s_delay_alu instid0(VALU_DEP_3) | instskip(SKIP_1) | instid1(VALU_DEP_3)
	v_cndmask_b32_e64 v69, 0, v3, s0
	v_cmp_gt_u32_e64 s0, s1, v37
	v_add_nc_u16 v1, v68, v1
	s_delay_alu instid0(VALU_DEP_3) | instskip(NEXT) | instid1(VALU_DEP_3)
	v_sub_nc_u16 v69, v2, v69
	v_cndmask_b32_e64 v70, 0, v4, s0
	v_cmp_gt_u32_e64 s0, s1, v38
	s_delay_alu instid0(VALU_DEP_3) | instskip(NEXT) | instid1(VALU_DEP_3)
	v_add_nc_u16 v2, v69, v2
	v_sub_nc_u16 v70, v3, v70
	s_delay_alu instid0(VALU_DEP_3) | instskip(SKIP_1) | instid1(VALU_DEP_3)
	v_cndmask_b32_e64 v71, 0, v5, s0
	v_cmp_gt_u32_e64 s0, s1, v39
	v_add_nc_u16 v3, v70, v3
	s_delay_alu instid0(VALU_DEP_3) | instskip(NEXT) | instid1(VALU_DEP_3)
	;; [unrolled: 11-line block ×11, first 2 shown]
	v_sub_nc_u16 v89, v22, v89
	v_cndmask_b32_e64 v66, 0, v66, s0
	v_cmp_gt_u32_e64 s0, s1, v58
	s_delay_alu instid0(VALU_DEP_3) | instskip(NEXT) | instid1(VALU_DEP_3)
	v_add_nc_u16 v22, v89, v22
	v_sub_nc_u16 v66, v31, v66
	s_delay_alu instid0(VALU_DEP_3) | instskip(SKIP_1) | instid1(VALU_DEP_2)
	v_cndmask_b32_e64 v90, 0, v25, s0
	v_cmp_gt_u32_e64 s0, s1, v64
	v_sub_nc_u16 v90, v24, v90
	s_delay_alu instid0(VALU_DEP_2) | instskip(SKIP_2) | instid1(VALU_DEP_3)
	v_cndmask_b32_e64 v91, 0, v31, s0
	v_cmp_gt_u32_e64 s0, s1, v62
	v_add_nc_u16 v31, v66, v31
	v_sub_nc_u16 v91, v30, v91
	s_delay_alu instid0(VALU_DEP_3) | instskip(SKIP_1) | instid1(VALU_DEP_2)
	v_cndmask_b32_e64 v92, 0, v29, s0
	v_cmp_gt_u32_e64 s0, s1, v63
	v_sub_nc_u16 v92, v28, v92
	s_delay_alu instid0(VALU_DEP_2) | instskip(SKIP_2) | instid1(VALU_DEP_3)
	v_cndmask_b32_e64 v93, 0, v30, s0
	v_cmp_gt_u32_e64 s0, s1, v59
	v_add_nc_u16 v30, v91, v30
	v_sub_nc_u16 v93, v29, v93
	s_delay_alu instid0(VALU_DEP_3) | instskip(SKIP_1) | instid1(VALU_DEP_3)
	v_cndmask_b32_e64 v66, 0, v26, s0
	v_cmp_gt_u32_e64 s0, s1, v61
	v_add_nc_u16 v29, v93, v29
	s_delay_alu instid0(VALU_DEP_3) | instskip(NEXT) | instid1(VALU_DEP_3)
	v_sub_nc_u16 v66, v25, v66
	v_cndmask_b32_e64 v91, 0, v28, s0
	v_cmp_gt_u32_e64 s0, s1, v60
	v_add_nc_u16 v28, v92, v28
	s_delay_alu instid0(VALU_DEP_4) | instskip(NEXT) | instid1(VALU_DEP_4)
	v_add_nc_u16 v25, v66, v25
	v_sub_nc_u16 v91, v27, v91
	s_delay_alu instid0(VALU_DEP_4) | instskip(SKIP_1) | instid1(VALU_DEP_3)
	v_cndmask_b32_e64 v93, 0, v27, s0
	v_cmp_gt_u32_e64 s0, s1, v57
	v_add_nc_u16 v27, v91, v27
	s_delay_alu instid0(VALU_DEP_3) | instskip(NEXT) | instid1(VALU_DEP_3)
	v_sub_nc_u16 v93, v26, v93
	v_cndmask_b32_e64 v92, 0, v24, s0
	v_add_nc_u16 v24, v90, v24
	s_add_i32 s0, s4, s1
	s_delay_alu instid0(VALU_DEP_3) | instskip(NEXT) | instid1(VALU_DEP_3)
	v_add_nc_u16 v26, v93, v26
	v_sub_nc_u16 v92, v23, v92
	s_and_b32 s1, s0, 0x1fff
	s_cmp_lg_u32 s5, 0
	s_delay_alu instid0(VALU_DEP_1)
	v_add_nc_u16 v23, v92, v23
	s_cbranch_scc0 .LBB167_4
.LBB167_2:                              ; =>This Inner Loop Header: Depth=1
	v_mov_b32_e32 v66, 0x7b
	s_waitcnt vmcnt(0)
	ds_store_b8 v0, v32
	s_waitcnt lgkmcnt(0)
	s_barrier
	buffer_gl0_inv
	s_and_saveexec_b32 s0, vcc_lo
	s_cbranch_execz .LBB167_1
; %bb.3:                                ;   in Loop: Header=BB167_2 Depth=1
	ds_load_u8 v66, v65
	s_branch .LBB167_1
.LBB167_4:
	s_add_u32 s0, s2, s8
	s_addc_u32 s1, s3, 0
	v_add_co_u32 v33, s0, s0, v0
	s_delay_alu instid0(VALU_DEP_1)
	v_add_co_ci_u32_e64 v34, null, s1, 0, s0
	s_clause 0x7
	global_store_b8 v[33:34], v31, off
	global_store_b8 v[33:34], v30, off offset:256
	global_store_b8 v[33:34], v29, off offset:512
	;; [unrolled: 1-line block ×7, first 2 shown]
	v_add_co_u32 v24, vcc_lo, 0x1000, v33
	v_add_co_ci_u32_e32 v25, vcc_lo, 0, v34, vcc_lo
	s_clause 0x17
	global_store_b8 v[33:34], v23, off offset:2048
	global_store_b8 v[33:34], v22, off offset:2304
	;; [unrolled: 1-line block ×8, first 2 shown]
	global_store_b8 v[24:25], v15, off
	global_store_b8 v[24:25], v14, off offset:256
	global_store_b8 v[24:25], v13, off offset:512
	;; [unrolled: 1-line block ×15, first 2 shown]
	s_nop 0
	s_sendmsg sendmsg(MSG_DEALLOC_VGPRS)
	s_endpgm
	.section	.rodata,"a",@progbits
	.p2align	6, 0x0
	.amdhsa_kernel _Z6kernelI26subtract_left_partial_tileLj256ELj32ELb1EJPaPiS1_jEEvDpT3_
		.amdhsa_group_segment_fixed_size 512
		.amdhsa_private_segment_fixed_size 0
		.amdhsa_kernarg_size 28
		.amdhsa_user_sgpr_count 15
		.amdhsa_user_sgpr_dispatch_ptr 0
		.amdhsa_user_sgpr_queue_ptr 0
		.amdhsa_user_sgpr_kernarg_segment_ptr 1
		.amdhsa_user_sgpr_dispatch_id 0
		.amdhsa_user_sgpr_private_segment_size 0
		.amdhsa_wavefront_size32 1
		.amdhsa_uses_dynamic_stack 0
		.amdhsa_enable_private_segment 0
		.amdhsa_system_sgpr_workgroup_id_x 1
		.amdhsa_system_sgpr_workgroup_id_y 0
		.amdhsa_system_sgpr_workgroup_id_z 0
		.amdhsa_system_sgpr_workgroup_info 0
		.amdhsa_system_vgpr_workitem_id 0
		.amdhsa_next_free_vgpr 94
		.amdhsa_next_free_sgpr 16
		.amdhsa_reserve_vcc 1
		.amdhsa_float_round_mode_32 0
		.amdhsa_float_round_mode_16_64 0
		.amdhsa_float_denorm_mode_32 3
		.amdhsa_float_denorm_mode_16_64 3
		.amdhsa_dx10_clamp 1
		.amdhsa_ieee_mode 1
		.amdhsa_fp16_overflow 0
		.amdhsa_workgroup_processor_mode 1
		.amdhsa_memory_ordered 1
		.amdhsa_forward_progress 0
		.amdhsa_shared_vgpr_count 0
		.amdhsa_exception_fp_ieee_invalid_op 0
		.amdhsa_exception_fp_denorm_src 0
		.amdhsa_exception_fp_ieee_div_zero 0
		.amdhsa_exception_fp_ieee_overflow 0
		.amdhsa_exception_fp_ieee_underflow 0
		.amdhsa_exception_fp_ieee_inexact 0
		.amdhsa_exception_int_div_zero 0
	.end_amdhsa_kernel
	.section	.text._Z6kernelI26subtract_left_partial_tileLj256ELj32ELb1EJPaPiS1_jEEvDpT3_,"axG",@progbits,_Z6kernelI26subtract_left_partial_tileLj256ELj32ELb1EJPaPiS1_jEEvDpT3_,comdat
.Lfunc_end167:
	.size	_Z6kernelI26subtract_left_partial_tileLj256ELj32ELb1EJPaPiS1_jEEvDpT3_, .Lfunc_end167-_Z6kernelI26subtract_left_partial_tileLj256ELj32ELb1EJPaPiS1_jEEvDpT3_
                                        ; -- End function
	.section	.AMDGPU.csdata,"",@progbits
; Kernel info:
; codeLenInByte = 2256
; NumSgprs: 18
; NumVgprs: 94
; ScratchSize: 0
; MemoryBound: 0
; FloatMode: 240
; IeeeMode: 1
; LDSByteSize: 512 bytes/workgroup (compile time only)
; SGPRBlocks: 2
; VGPRBlocks: 11
; NumSGPRsForWavesPerEU: 18
; NumVGPRsForWavesPerEU: 94
; Occupancy: 16
; WaveLimiterHint : 1
; COMPUTE_PGM_RSRC2:SCRATCH_EN: 0
; COMPUTE_PGM_RSRC2:USER_SGPR: 15
; COMPUTE_PGM_RSRC2:TRAP_HANDLER: 0
; COMPUTE_PGM_RSRC2:TGID_X_EN: 1
; COMPUTE_PGM_RSRC2:TGID_Y_EN: 0
; COMPUTE_PGM_RSRC2:TGID_Z_EN: 0
; COMPUTE_PGM_RSRC2:TIDIG_COMP_CNT: 0
	.section	.text._Z6kernelI26subtract_left_partial_tileLj256ELj1ELb1EJPxPiS1_jEEvDpT3_,"axG",@progbits,_Z6kernelI26subtract_left_partial_tileLj256ELj1ELb1EJPxPiS1_jEEvDpT3_,comdat
	.protected	_Z6kernelI26subtract_left_partial_tileLj256ELj1ELb1EJPxPiS1_jEEvDpT3_ ; -- Begin function _Z6kernelI26subtract_left_partial_tileLj256ELj1ELb1EJPxPiS1_jEEvDpT3_
	.globl	_Z6kernelI26subtract_left_partial_tileLj256ELj1ELb1EJPxPiS1_jEEvDpT3_
	.p2align	8
	.type	_Z6kernelI26subtract_left_partial_tileLj256ELj1ELb1EJPxPiS1_jEEvDpT3_,@function
_Z6kernelI26subtract_left_partial_tileLj256ELj1ELb1EJPxPiS1_jEEvDpT3_: ; @_Z6kernelI26subtract_left_partial_tileLj256ELj1ELb1EJPxPiS1_jEEvDpT3_
; %bb.0:
	s_clause 0x1
	s_load_b128 s[8:11], s[0:1], 0x0
	s_load_b64 s[4:5], s[0:1], 0x10
	s_lshl_b32 s12, s15, 8
	s_mov_b32 s13, 0
	v_lshlrev_b32_e32 v5, 3, v0
	s_lshl_b64 s[2:3], s[12:13], 3
	s_mov_b32 s6, s15
	s_mov_b32 s7, s13
	v_cmp_ne_u32_e32 vcc_lo, 0, v0
	v_add_nc_u32_e32 v6, -8, v5
	s_waitcnt lgkmcnt(0)
	s_add_u32 s8, s8, s2
	s_addc_u32 s9, s9, s3
	global_load_b64 v[1:2], v5, s[8:9]
	s_load_b32 s8, s[0:1], 0x18
	s_lshl_b64 s[0:1], s[6:7], 2
	s_delay_alu instid0(SALU_CYCLE_1)
	s_add_u32 s0, s10, s0
	s_addc_u32 s1, s11, s1
	s_load_b32 s1, s[0:1], 0x0
	s_waitcnt lgkmcnt(0)
	v_cvt_f32_u32_e32 v3, s8
	s_sub_i32 s7, 0, s8
	s_delay_alu instid0(VALU_DEP_1) | instskip(SKIP_2) | instid1(VALU_DEP_1)
	v_rcp_iflag_f32_e32 v3, v3
	s_waitcnt_depctr 0xfff
	v_mul_f32_e32 v3, 0x4f7ffffe, v3
	v_cvt_u32_f32_e32 v3, v3
	s_delay_alu instid0(VALU_DEP_1) | instskip(NEXT) | instid1(VALU_DEP_1)
	v_readfirstlane_b32 s6, v3
	s_mul_i32 s7, s7, s6
	s_delay_alu instid0(SALU_CYCLE_1) | instskip(NEXT) | instid1(SALU_CYCLE_1)
	s_mul_hi_u32 s7, s6, s7
	s_add_i32 s6, s6, s7
	s_delay_alu instid0(SALU_CYCLE_1) | instskip(NEXT) | instid1(SALU_CYCLE_1)
	s_lshr_b32 s6, s6, 24
	s_mul_i32 s0, s6, s8
	s_add_i32 s7, s6, 1
	s_sub_i32 s0, 0x100, s0
	s_delay_alu instid0(SALU_CYCLE_1)
	s_sub_i32 s9, s0, s8
	s_cmp_ge_u32 s0, s8
	s_cselect_b32 s6, s7, s6
	s_cselect_b32 s0, s9, s0
	s_add_i32 s7, s6, 1
	s_cmp_ge_u32 s0, s8
	s_cselect_b32 s6, s7, s6
	s_max_u32 s7, s8, 1
	s_add_i32 s6, s6, 1
	s_set_inst_prefetch_distance 0x1
	s_branch .LBB168_2
	.p2align	6
.LBB168_1:                              ;   in Loop: Header=BB168_2 Depth=1
	s_or_b32 exec_lo, exec_lo, s0
	v_cmp_gt_u32_e64 s0, s1, v0
	v_lshlrev_b64 v[1:2], 1, v[1:2]
	s_add_i32 s7, s7, -1
	s_waitcnt lgkmcnt(0)
	s_barrier
	v_cndmask_b32_e64 v3, 0, v3, s0
	v_cndmask_b32_e64 v4, 0, v4, s0
	s_add_i32 s0, s6, s1
	buffer_gl0_inv
	s_and_b32 s1, s0, 0xff
	v_sub_co_u32 v1, s0, v1, v3
	s_delay_alu instid0(VALU_DEP_1)
	v_sub_co_ci_u32_e64 v2, s0, v2, v4, s0
	s_cmp_lg_u32 s7, 0
	s_cbranch_scc0 .LBB168_4
.LBB168_2:                              ; =>This Inner Loop Header: Depth=1
	v_mov_b32_e32 v3, 0x7b
	v_mov_b32_e32 v4, 0
	s_waitcnt vmcnt(0)
	ds_store_b64 v5, v[1:2]
	s_waitcnt lgkmcnt(0)
	s_barrier
	buffer_gl0_inv
	s_and_saveexec_b32 s0, vcc_lo
	s_cbranch_execz .LBB168_1
; %bb.3:                                ;   in Loop: Header=BB168_2 Depth=1
	ds_load_b64 v[3:4], v6
	s_branch .LBB168_1
.LBB168_4:
	s_set_inst_prefetch_distance 0x2
	v_lshlrev_b32_e32 v0, 3, v0
	s_add_u32 s0, s4, s2
	s_addc_u32 s1, s5, s3
	global_store_b64 v0, v[1:2], s[0:1]
	s_nop 0
	s_sendmsg sendmsg(MSG_DEALLOC_VGPRS)
	s_endpgm
	.section	.rodata,"a",@progbits
	.p2align	6, 0x0
	.amdhsa_kernel _Z6kernelI26subtract_left_partial_tileLj256ELj1ELb1EJPxPiS1_jEEvDpT3_
		.amdhsa_group_segment_fixed_size 4096
		.amdhsa_private_segment_fixed_size 0
		.amdhsa_kernarg_size 28
		.amdhsa_user_sgpr_count 15
		.amdhsa_user_sgpr_dispatch_ptr 0
		.amdhsa_user_sgpr_queue_ptr 0
		.amdhsa_user_sgpr_kernarg_segment_ptr 1
		.amdhsa_user_sgpr_dispatch_id 0
		.amdhsa_user_sgpr_private_segment_size 0
		.amdhsa_wavefront_size32 1
		.amdhsa_uses_dynamic_stack 0
		.amdhsa_enable_private_segment 0
		.amdhsa_system_sgpr_workgroup_id_x 1
		.amdhsa_system_sgpr_workgroup_id_y 0
		.amdhsa_system_sgpr_workgroup_id_z 0
		.amdhsa_system_sgpr_workgroup_info 0
		.amdhsa_system_vgpr_workitem_id 0
		.amdhsa_next_free_vgpr 7
		.amdhsa_next_free_sgpr 16
		.amdhsa_reserve_vcc 1
		.amdhsa_float_round_mode_32 0
		.amdhsa_float_round_mode_16_64 0
		.amdhsa_float_denorm_mode_32 3
		.amdhsa_float_denorm_mode_16_64 3
		.amdhsa_dx10_clamp 1
		.amdhsa_ieee_mode 1
		.amdhsa_fp16_overflow 0
		.amdhsa_workgroup_processor_mode 1
		.amdhsa_memory_ordered 1
		.amdhsa_forward_progress 0
		.amdhsa_shared_vgpr_count 0
		.amdhsa_exception_fp_ieee_invalid_op 0
		.amdhsa_exception_fp_denorm_src 0
		.amdhsa_exception_fp_ieee_div_zero 0
		.amdhsa_exception_fp_ieee_overflow 0
		.amdhsa_exception_fp_ieee_underflow 0
		.amdhsa_exception_fp_ieee_inexact 0
		.amdhsa_exception_int_div_zero 0
	.end_amdhsa_kernel
	.section	.text._Z6kernelI26subtract_left_partial_tileLj256ELj1ELb1EJPxPiS1_jEEvDpT3_,"axG",@progbits,_Z6kernelI26subtract_left_partial_tileLj256ELj1ELb1EJPxPiS1_jEEvDpT3_,comdat
.Lfunc_end168:
	.size	_Z6kernelI26subtract_left_partial_tileLj256ELj1ELb1EJPxPiS1_jEEvDpT3_, .Lfunc_end168-_Z6kernelI26subtract_left_partial_tileLj256ELj1ELb1EJPxPiS1_jEEvDpT3_
                                        ; -- End function
	.section	.AMDGPU.csdata,"",@progbits
; Kernel info:
; codeLenInByte = 428
; NumSgprs: 18
; NumVgprs: 7
; ScratchSize: 0
; MemoryBound: 0
; FloatMode: 240
; IeeeMode: 1
; LDSByteSize: 4096 bytes/workgroup (compile time only)
; SGPRBlocks: 2
; VGPRBlocks: 0
; NumSGPRsForWavesPerEU: 18
; NumVGPRsForWavesPerEU: 7
; Occupancy: 16
; WaveLimiterHint : 0
; COMPUTE_PGM_RSRC2:SCRATCH_EN: 0
; COMPUTE_PGM_RSRC2:USER_SGPR: 15
; COMPUTE_PGM_RSRC2:TRAP_HANDLER: 0
; COMPUTE_PGM_RSRC2:TGID_X_EN: 1
; COMPUTE_PGM_RSRC2:TGID_Y_EN: 0
; COMPUTE_PGM_RSRC2:TGID_Z_EN: 0
; COMPUTE_PGM_RSRC2:TIDIG_COMP_CNT: 0
	.section	.text._Z6kernelI26subtract_left_partial_tileLj256ELj3ELb1EJPxPiS1_jEEvDpT3_,"axG",@progbits,_Z6kernelI26subtract_left_partial_tileLj256ELj3ELb1EJPxPiS1_jEEvDpT3_,comdat
	.protected	_Z6kernelI26subtract_left_partial_tileLj256ELj3ELb1EJPxPiS1_jEEvDpT3_ ; -- Begin function _Z6kernelI26subtract_left_partial_tileLj256ELj3ELb1EJPxPiS1_jEEvDpT3_
	.globl	_Z6kernelI26subtract_left_partial_tileLj256ELj3ELb1EJPxPiS1_jEEvDpT3_
	.p2align	8
	.type	_Z6kernelI26subtract_left_partial_tileLj256ELj3ELb1EJPxPiS1_jEEvDpT3_,@function
_Z6kernelI26subtract_left_partial_tileLj256ELj3ELb1EJPxPiS1_jEEvDpT3_: ; @_Z6kernelI26subtract_left_partial_tileLj256ELj3ELb1EJPxPiS1_jEEvDpT3_
; %bb.0:
	s_clause 0x1
	s_load_b128 s[4:7], s[0:1], 0x0
	s_load_b64 s[8:9], s[0:1], 0x10
	s_mov_b32 s13, 0
	s_mul_i32 s12, s15, 0x300
	v_lshlrev_b32_e32 v9, 3, v0
	s_lshl_b64 s[2:3], s[12:13], 3
	s_load_b32 s12, s[0:1], 0x18
	s_mov_b32 s10, s15
	v_mul_u32_u24_e32 v10, 3, v0
	v_mad_u32_u24 v11, v0, 3, 2
	v_mad_u32_u24 v12, v0, 3, 1
	v_add_nc_u32_e32 v13, -8, v9
	s_waitcnt lgkmcnt(0)
	s_add_u32 s4, s4, s2
	s_addc_u32 s5, s5, s3
	v_add_co_u32 v1, s11, s4, v9
	s_delay_alu instid0(VALU_DEP_1) | instskip(SKIP_1) | instid1(VALU_DEP_3)
	v_add_co_ci_u32_e64 v2, null, s5, 0, s11
	v_cvt_f32_u32_e32 v7, s12
	v_add_co_u32 v5, vcc_lo, 0x1000, v1
	s_delay_alu instid0(VALU_DEP_3) | instskip(NEXT) | instid1(VALU_DEP_3)
	v_add_co_ci_u32_e32 v6, vcc_lo, 0, v2, vcc_lo
	v_rcp_iflag_f32_e32 v7, v7
	s_clause 0x2
	global_load_b64 v[1:2], v9, s[4:5]
	global_load_b64 v[3:4], v9, s[4:5] offset:2048
	global_load_b64 v[5:6], v[5:6], off
	s_mov_b32 s11, s13
	v_cmp_ne_u32_e32 vcc_lo, 0, v0
	s_lshl_b64 s[0:1], s[10:11], 2
	s_delay_alu instid0(SALU_CYCLE_1) | instskip(SKIP_3) | instid1(VALU_DEP_1)
	s_add_u32 s0, s6, s0
	s_addc_u32 s1, s7, s1
	s_sub_i32 s5, 0, s12
	v_mul_f32_e32 v7, 0x4f7ffffe, v7
	v_cvt_u32_f32_e32 v7, v7
	s_delay_alu instid0(VALU_DEP_1) | instskip(NEXT) | instid1(VALU_DEP_1)
	v_readfirstlane_b32 s4, v7
	s_mul_i32 s5, s5, s4
	s_delay_alu instid0(SALU_CYCLE_1) | instskip(NEXT) | instid1(SALU_CYCLE_1)
	s_mul_hi_u32 s5, s4, s5
	s_add_i32 s4, s4, s5
	s_delay_alu instid0(SALU_CYCLE_1) | instskip(SKIP_4) | instid1(SALU_CYCLE_1)
	s_mul_hi_u32 s5, s4, 0x300
	s_load_b32 s4, s[0:1], 0x0
	s_mul_i32 s6, s5, s12
	s_add_i32 s1, s5, 1
	s_sub_i32 s0, 0x300, s6
	s_sub_i32 s6, s0, s12
	s_cmp_ge_u32 s0, s12
	s_cselect_b32 s1, s1, s5
	s_cselect_b32 s0, s6, s0
	s_add_i32 s5, s1, 1
	s_cmp_ge_u32 s0, s12
	s_cselect_b32 s5, s5, s1
	s_max_u32 s6, s12, 1
	s_add_i32 s5, s5, 1
	s_branch .LBB169_2
.LBB169_1:                              ;   in Loop: Header=BB169_2 Depth=1
	s_or_b32 exec_lo, exec_lo, s0
	v_cmp_gt_u32_e64 s0, s4, v11
	v_cmp_gt_u32_e64 s1, s4, v12
	s_add_i32 s6, s6, -1
	s_waitcnt lgkmcnt(0)
	s_barrier
	v_cndmask_b32_e64 v14, 0, v4, s0
	v_cndmask_b32_e64 v15, 0, v3, s0
	v_cmp_gt_u32_e64 s0, s4, v10
	v_cndmask_b32_e64 v17, 0, v1, s1
	v_cndmask_b32_e64 v16, 0, v2, s1
	buffer_gl0_inv
	v_sub_co_u32 v15, s1, v5, v15
	v_cndmask_b32_e64 v7, 0, v7, s0
	v_cndmask_b32_e64 v8, 0, v8, s0
	v_sub_co_u32 v17, s0, v3, v17
	s_delay_alu instid0(VALU_DEP_1) | instskip(NEXT) | instid1(VALU_DEP_4)
	v_sub_co_ci_u32_e64 v16, s0, v4, v16, s0
	v_sub_co_u32 v7, s0, v1, v7
	s_delay_alu instid0(VALU_DEP_1) | instskip(SKIP_1) | instid1(VALU_DEP_3)
	v_sub_co_ci_u32_e64 v8, s0, v2, v8, s0
	v_sub_co_ci_u32_e64 v14, s1, v6, v14, s1
	v_add_co_u32 v1, s0, v7, v1
	s_add_i32 s1, s5, s4
	s_delay_alu instid0(VALU_DEP_3)
	v_add_co_ci_u32_e64 v2, s0, v8, v2, s0
	v_add_co_u32 v3, s0, v17, v3
	s_mul_hi_u32 s4, s1, 0xaaaaaaab
	v_add_co_ci_u32_e64 v4, s0, v16, v4, s0
	s_lshr_b32 s4, s4, 9
	v_add_co_u32 v5, s0, v15, v5
	s_mulk_i32 s4, 0x300
	v_add_co_ci_u32_e64 v6, s0, v14, v6, s0
	s_sub_i32 s4, s1, s4
	s_cmp_lg_u32 s6, 0
	s_cbranch_scc0 .LBB169_4
.LBB169_2:                              ; =>This Inner Loop Header: Depth=1
	v_mov_b32_e32 v7, 0x7b
	v_mov_b32_e32 v8, 0
	s_waitcnt vmcnt(0)
	ds_store_b64 v9, v[5:6]
	s_waitcnt lgkmcnt(0)
	s_barrier
	buffer_gl0_inv
	s_and_saveexec_b32 s0, vcc_lo
	s_cbranch_execz .LBB169_1
; %bb.3:                                ;   in Loop: Header=BB169_2 Depth=1
	ds_load_b64 v[7:8], v13
	s_branch .LBB169_1
.LBB169_4:
	v_lshlrev_b32_e32 v0, 3, v0
	s_add_u32 s0, s8, s2
	s_addc_u32 s1, s9, s3
	s_delay_alu instid0(VALU_DEP_1) | instskip(NEXT) | instid1(VALU_DEP_1)
	v_add_co_u32 v7, s2, s0, v0
	v_add_co_ci_u32_e64 v8, null, s1, 0, s2
	s_delay_alu instid0(VALU_DEP_2) | instskip(NEXT) | instid1(VALU_DEP_2)
	v_add_co_u32 v7, vcc_lo, 0x1000, v7
	v_add_co_ci_u32_e32 v8, vcc_lo, 0, v8, vcc_lo
	s_clause 0x2
	global_store_b64 v0, v[1:2], s[0:1]
	global_store_b64 v0, v[3:4], s[0:1] offset:2048
	global_store_b64 v[7:8], v[5:6], off
	s_nop 0
	s_sendmsg sendmsg(MSG_DEALLOC_VGPRS)
	s_endpgm
	.section	.rodata,"a",@progbits
	.p2align	6, 0x0
	.amdhsa_kernel _Z6kernelI26subtract_left_partial_tileLj256ELj3ELb1EJPxPiS1_jEEvDpT3_
		.amdhsa_group_segment_fixed_size 4096
		.amdhsa_private_segment_fixed_size 0
		.amdhsa_kernarg_size 28
		.amdhsa_user_sgpr_count 15
		.amdhsa_user_sgpr_dispatch_ptr 0
		.amdhsa_user_sgpr_queue_ptr 0
		.amdhsa_user_sgpr_kernarg_segment_ptr 1
		.amdhsa_user_sgpr_dispatch_id 0
		.amdhsa_user_sgpr_private_segment_size 0
		.amdhsa_wavefront_size32 1
		.amdhsa_uses_dynamic_stack 0
		.amdhsa_enable_private_segment 0
		.amdhsa_system_sgpr_workgroup_id_x 1
		.amdhsa_system_sgpr_workgroup_id_y 0
		.amdhsa_system_sgpr_workgroup_id_z 0
		.amdhsa_system_sgpr_workgroup_info 0
		.amdhsa_system_vgpr_workitem_id 0
		.amdhsa_next_free_vgpr 18
		.amdhsa_next_free_sgpr 16
		.amdhsa_reserve_vcc 1
		.amdhsa_float_round_mode_32 0
		.amdhsa_float_round_mode_16_64 0
		.amdhsa_float_denorm_mode_32 3
		.amdhsa_float_denorm_mode_16_64 3
		.amdhsa_dx10_clamp 1
		.amdhsa_ieee_mode 1
		.amdhsa_fp16_overflow 0
		.amdhsa_workgroup_processor_mode 1
		.amdhsa_memory_ordered 1
		.amdhsa_forward_progress 0
		.amdhsa_shared_vgpr_count 0
		.amdhsa_exception_fp_ieee_invalid_op 0
		.amdhsa_exception_fp_denorm_src 0
		.amdhsa_exception_fp_ieee_div_zero 0
		.amdhsa_exception_fp_ieee_overflow 0
		.amdhsa_exception_fp_ieee_underflow 0
		.amdhsa_exception_fp_ieee_inexact 0
		.amdhsa_exception_int_div_zero 0
	.end_amdhsa_kernel
	.section	.text._Z6kernelI26subtract_left_partial_tileLj256ELj3ELb1EJPxPiS1_jEEvDpT3_,"axG",@progbits,_Z6kernelI26subtract_left_partial_tileLj256ELj3ELb1EJPxPiS1_jEEvDpT3_,comdat
.Lfunc_end169:
	.size	_Z6kernelI26subtract_left_partial_tileLj256ELj3ELb1EJPxPiS1_jEEvDpT3_, .Lfunc_end169-_Z6kernelI26subtract_left_partial_tileLj256ELj3ELb1EJPxPiS1_jEEvDpT3_
                                        ; -- End function
	.section	.AMDGPU.csdata,"",@progbits
; Kernel info:
; codeLenInByte = 692
; NumSgprs: 18
; NumVgprs: 18
; ScratchSize: 0
; MemoryBound: 0
; FloatMode: 240
; IeeeMode: 1
; LDSByteSize: 4096 bytes/workgroup (compile time only)
; SGPRBlocks: 2
; VGPRBlocks: 2
; NumSGPRsForWavesPerEU: 18
; NumVGPRsForWavesPerEU: 18
; Occupancy: 16
; WaveLimiterHint : 1
; COMPUTE_PGM_RSRC2:SCRATCH_EN: 0
; COMPUTE_PGM_RSRC2:USER_SGPR: 15
; COMPUTE_PGM_RSRC2:TRAP_HANDLER: 0
; COMPUTE_PGM_RSRC2:TGID_X_EN: 1
; COMPUTE_PGM_RSRC2:TGID_Y_EN: 0
; COMPUTE_PGM_RSRC2:TGID_Z_EN: 0
; COMPUTE_PGM_RSRC2:TIDIG_COMP_CNT: 0
	.section	.text._Z6kernelI26subtract_left_partial_tileLj256ELj4ELb1EJPxPiS1_jEEvDpT3_,"axG",@progbits,_Z6kernelI26subtract_left_partial_tileLj256ELj4ELb1EJPxPiS1_jEEvDpT3_,comdat
	.protected	_Z6kernelI26subtract_left_partial_tileLj256ELj4ELb1EJPxPiS1_jEEvDpT3_ ; -- Begin function _Z6kernelI26subtract_left_partial_tileLj256ELj4ELb1EJPxPiS1_jEEvDpT3_
	.globl	_Z6kernelI26subtract_left_partial_tileLj256ELj4ELb1EJPxPiS1_jEEvDpT3_
	.p2align	8
	.type	_Z6kernelI26subtract_left_partial_tileLj256ELj4ELb1EJPxPiS1_jEEvDpT3_,@function
_Z6kernelI26subtract_left_partial_tileLj256ELj4ELb1EJPxPiS1_jEEvDpT3_: ; @_Z6kernelI26subtract_left_partial_tileLj256ELj4ELb1EJPxPiS1_jEEvDpT3_
; %bb.0:
	s_clause 0x1
	s_load_b128 s[4:7], s[0:1], 0x0
	s_load_b64 s[8:9], s[0:1], 0x10
	s_mov_b32 s13, 0
	s_lshl_b32 s12, s15, 10
	v_lshlrev_b32_e32 v11, 3, v0
	s_lshl_b64 s[2:3], s[12:13], 3
	s_load_b32 s12, s[0:1], 0x18
	s_mov_b32 s10, s15
	v_lshlrev_b32_e32 v12, 2, v0
	v_add_nc_u32_e32 v16, -8, v11
	s_delay_alu instid0(VALU_DEP_2)
	v_or_b32_e32 v13, 3, v12
	v_or_b32_e32 v14, 2, v12
	;; [unrolled: 1-line block ×3, first 2 shown]
	s_waitcnt lgkmcnt(0)
	s_add_u32 s4, s4, s2
	s_addc_u32 s5, s5, s3
	v_add_co_u32 v1, s11, s4, v11
	s_delay_alu instid0(VALU_DEP_1) | instskip(SKIP_1) | instid1(VALU_DEP_3)
	v_add_co_ci_u32_e64 v2, null, s5, 0, s11
	v_cvt_f32_u32_e32 v9, s12
	v_add_co_u32 v7, vcc_lo, 0x1000, v1
	s_delay_alu instid0(VALU_DEP_3)
	v_add_co_ci_u32_e32 v8, vcc_lo, 0, v2, vcc_lo
	s_clause 0x3
	global_load_b64 v[1:2], v11, s[4:5]
	global_load_b64 v[3:4], v11, s[4:5] offset:2048
	global_load_b64 v[5:6], v[7:8], off
	global_load_b64 v[7:8], v[7:8], off offset:2048
	v_rcp_iflag_f32_e32 v9, v9
	s_mov_b32 s11, s13
	v_cmp_ne_u32_e32 vcc_lo, 0, v0
	s_lshl_b64 s[0:1], s[10:11], 2
	s_delay_alu instid0(SALU_CYCLE_1) | instskip(SKIP_4) | instid1(VALU_DEP_1)
	s_add_u32 s0, s6, s0
	s_addc_u32 s1, s7, s1
	s_sub_i32 s5, 0, s12
	s_waitcnt_depctr 0xfff
	v_mul_f32_e32 v9, 0x4f7ffffe, v9
	v_cvt_u32_f32_e32 v9, v9
	s_delay_alu instid0(VALU_DEP_1) | instskip(NEXT) | instid1(VALU_DEP_1)
	v_readfirstlane_b32 s4, v9
	s_mul_i32 s5, s5, s4
	s_delay_alu instid0(SALU_CYCLE_1) | instskip(NEXT) | instid1(SALU_CYCLE_1)
	s_mul_hi_u32 s5, s4, s5
	s_add_i32 s4, s4, s5
	s_delay_alu instid0(SALU_CYCLE_1) | instskip(SKIP_4) | instid1(SALU_CYCLE_1)
	s_lshr_b32 s5, s4, 22
	s_load_b32 s4, s[0:1], 0x0
	s_mul_i32 s6, s5, s12
	s_add_i32 s1, s5, 1
	s_sub_i32 s0, 0x400, s6
	s_sub_i32 s6, s0, s12
	s_cmp_ge_u32 s0, s12
	s_cselect_b32 s1, s1, s5
	s_cselect_b32 s0, s6, s0
	s_add_i32 s5, s1, 1
	s_cmp_ge_u32 s0, s12
	s_cselect_b32 s5, s5, s1
	s_max_u32 s6, s12, 1
	s_add_i32 s5, s5, 1
	s_branch .LBB170_2
.LBB170_1:                              ;   in Loop: Header=BB170_2 Depth=1
	s_or_b32 exec_lo, exec_lo, s0
	v_cmp_gt_u32_e64 s0, s4, v13
	v_cmp_gt_u32_e64 s1, s4, v14
	s_add_i32 s6, s6, -1
	s_waitcnt lgkmcnt(0)
	s_barrier
	v_cndmask_b32_e64 v18, 0, v5, s0
	v_cndmask_b32_e64 v17, 0, v6, s0
	;; [unrolled: 1-line block ×3, first 2 shown]
	v_cmp_gt_u32_e64 s0, s4, v12
	v_cndmask_b32_e64 v20, 0, v3, s1
	v_sub_co_u32 v18, s1, v7, v18
	s_delay_alu instid0(VALU_DEP_1) | instskip(SKIP_4) | instid1(VALU_DEP_4)
	v_sub_co_ci_u32_e64 v17, s1, v8, v17, s1
	v_cmp_gt_u32_e64 s1, s4, v15
	v_cndmask_b32_e64 v9, 0, v9, s0
	v_cndmask_b32_e64 v10, 0, v10, s0
	v_sub_co_u32 v20, s0, v5, v20
	v_cndmask_b32_e64 v22, 0, v1, s1
	v_sub_co_ci_u32_e64 v19, s0, v6, v19, s0
	v_cndmask_b32_e64 v21, 0, v2, s1
	v_sub_co_u32 v9, s0, v1, v9
	s_delay_alu instid0(VALU_DEP_1) | instskip(SKIP_1) | instid1(VALU_DEP_1)
	v_sub_co_ci_u32_e64 v10, s0, v2, v10, s0
	v_sub_co_u32 v22, s0, v3, v22
	v_sub_co_ci_u32_e64 v21, s0, v4, v21, s0
	s_delay_alu instid0(VALU_DEP_4) | instskip(NEXT) | instid1(VALU_DEP_1)
	v_add_co_u32 v1, s0, v9, v1
	v_add_co_ci_u32_e64 v2, s0, v10, v2, s0
	s_delay_alu instid0(VALU_DEP_4) | instskip(NEXT) | instid1(VALU_DEP_1)
	v_add_co_u32 v3, s0, v22, v3
	v_add_co_ci_u32_e64 v4, s0, v21, v4, s0
	v_add_co_u32 v5, s0, v20, v5
	s_delay_alu instid0(VALU_DEP_1)
	v_add_co_ci_u32_e64 v6, s0, v19, v6, s0
	v_add_co_u32 v7, s0, v18, v7
	s_add_i32 s1, s5, s4
	v_add_co_ci_u32_e64 v8, s0, v17, v8, s0
	s_and_b32 s4, s1, 0x3ff
	s_cmp_lg_u32 s6, 0
	buffer_gl0_inv
	s_cbranch_scc0 .LBB170_4
.LBB170_2:                              ; =>This Inner Loop Header: Depth=1
	v_mov_b32_e32 v9, 0x7b
	v_mov_b32_e32 v10, 0
	s_waitcnt vmcnt(0)
	ds_store_b64 v11, v[7:8]
	s_waitcnt lgkmcnt(0)
	s_barrier
	buffer_gl0_inv
	s_and_saveexec_b32 s0, vcc_lo
	s_cbranch_execz .LBB170_1
; %bb.3:                                ;   in Loop: Header=BB170_2 Depth=1
	ds_load_b64 v[9:10], v16
	s_branch .LBB170_1
.LBB170_4:
	v_lshlrev_b32_e32 v0, 3, v0
	s_add_u32 s0, s8, s2
	s_addc_u32 s1, s9, s3
	s_delay_alu instid0(VALU_DEP_1) | instskip(NEXT) | instid1(VALU_DEP_1)
	v_add_co_u32 v9, s2, s0, v0
	v_add_co_ci_u32_e64 v10, null, s1, 0, s2
	s_delay_alu instid0(VALU_DEP_2) | instskip(NEXT) | instid1(VALU_DEP_2)
	v_add_co_u32 v9, vcc_lo, 0x1000, v9
	v_add_co_ci_u32_e32 v10, vcc_lo, 0, v10, vcc_lo
	s_clause 0x3
	global_store_b64 v0, v[1:2], s[0:1]
	global_store_b64 v0, v[3:4], s[0:1] offset:2048
	global_store_b64 v[9:10], v[5:6], off
	global_store_b64 v[9:10], v[7:8], off offset:2048
	s_nop 0
	s_sendmsg sendmsg(MSG_DEALLOC_VGPRS)
	s_endpgm
	.section	.rodata,"a",@progbits
	.p2align	6, 0x0
	.amdhsa_kernel _Z6kernelI26subtract_left_partial_tileLj256ELj4ELb1EJPxPiS1_jEEvDpT3_
		.amdhsa_group_segment_fixed_size 4096
		.amdhsa_private_segment_fixed_size 0
		.amdhsa_kernarg_size 28
		.amdhsa_user_sgpr_count 15
		.amdhsa_user_sgpr_dispatch_ptr 0
		.amdhsa_user_sgpr_queue_ptr 0
		.amdhsa_user_sgpr_kernarg_segment_ptr 1
		.amdhsa_user_sgpr_dispatch_id 0
		.amdhsa_user_sgpr_private_segment_size 0
		.amdhsa_wavefront_size32 1
		.amdhsa_uses_dynamic_stack 0
		.amdhsa_enable_private_segment 0
		.amdhsa_system_sgpr_workgroup_id_x 1
		.amdhsa_system_sgpr_workgroup_id_y 0
		.amdhsa_system_sgpr_workgroup_id_z 0
		.amdhsa_system_sgpr_workgroup_info 0
		.amdhsa_system_vgpr_workitem_id 0
		.amdhsa_next_free_vgpr 23
		.amdhsa_next_free_sgpr 16
		.amdhsa_reserve_vcc 1
		.amdhsa_float_round_mode_32 0
		.amdhsa_float_round_mode_16_64 0
		.amdhsa_float_denorm_mode_32 3
		.amdhsa_float_denorm_mode_16_64 3
		.amdhsa_dx10_clamp 1
		.amdhsa_ieee_mode 1
		.amdhsa_fp16_overflow 0
		.amdhsa_workgroup_processor_mode 1
		.amdhsa_memory_ordered 1
		.amdhsa_forward_progress 0
		.amdhsa_shared_vgpr_count 0
		.amdhsa_exception_fp_ieee_invalid_op 0
		.amdhsa_exception_fp_denorm_src 0
		.amdhsa_exception_fp_ieee_div_zero 0
		.amdhsa_exception_fp_ieee_overflow 0
		.amdhsa_exception_fp_ieee_underflow 0
		.amdhsa_exception_fp_ieee_inexact 0
		.amdhsa_exception_int_div_zero 0
	.end_amdhsa_kernel
	.section	.text._Z6kernelI26subtract_left_partial_tileLj256ELj4ELb1EJPxPiS1_jEEvDpT3_,"axG",@progbits,_Z6kernelI26subtract_left_partial_tileLj256ELj4ELb1EJPxPiS1_jEEvDpT3_,comdat
.Lfunc_end170:
	.size	_Z6kernelI26subtract_left_partial_tileLj256ELj4ELb1EJPxPiS1_jEEvDpT3_, .Lfunc_end170-_Z6kernelI26subtract_left_partial_tileLj256ELj4ELb1EJPxPiS1_jEEvDpT3_
                                        ; -- End function
	.section	.AMDGPU.csdata,"",@progbits
; Kernel info:
; codeLenInByte = 756
; NumSgprs: 18
; NumVgprs: 23
; ScratchSize: 0
; MemoryBound: 0
; FloatMode: 240
; IeeeMode: 1
; LDSByteSize: 4096 bytes/workgroup (compile time only)
; SGPRBlocks: 2
; VGPRBlocks: 2
; NumSGPRsForWavesPerEU: 18
; NumVGPRsForWavesPerEU: 23
; Occupancy: 16
; WaveLimiterHint : 1
; COMPUTE_PGM_RSRC2:SCRATCH_EN: 0
; COMPUTE_PGM_RSRC2:USER_SGPR: 15
; COMPUTE_PGM_RSRC2:TRAP_HANDLER: 0
; COMPUTE_PGM_RSRC2:TGID_X_EN: 1
; COMPUTE_PGM_RSRC2:TGID_Y_EN: 0
; COMPUTE_PGM_RSRC2:TGID_Z_EN: 0
; COMPUTE_PGM_RSRC2:TIDIG_COMP_CNT: 0
	.section	.text._Z6kernelI26subtract_left_partial_tileLj256ELj8ELb1EJPxPiS1_jEEvDpT3_,"axG",@progbits,_Z6kernelI26subtract_left_partial_tileLj256ELj8ELb1EJPxPiS1_jEEvDpT3_,comdat
	.protected	_Z6kernelI26subtract_left_partial_tileLj256ELj8ELb1EJPxPiS1_jEEvDpT3_ ; -- Begin function _Z6kernelI26subtract_left_partial_tileLj256ELj8ELb1EJPxPiS1_jEEvDpT3_
	.globl	_Z6kernelI26subtract_left_partial_tileLj256ELj8ELb1EJPxPiS1_jEEvDpT3_
	.p2align	8
	.type	_Z6kernelI26subtract_left_partial_tileLj256ELj8ELb1EJPxPiS1_jEEvDpT3_,@function
_Z6kernelI26subtract_left_partial_tileLj256ELj8ELb1EJPxPiS1_jEEvDpT3_: ; @_Z6kernelI26subtract_left_partial_tileLj256ELj8ELb1EJPxPiS1_jEEvDpT3_
; %bb.0:
	s_clause 0x1
	s_load_b128 s[4:7], s[0:1], 0x0
	s_load_b64 s[10:11], s[0:1], 0x10
	s_mov_b32 s13, 0
	s_lshl_b32 s12, s15, 11
	v_lshlrev_b32_e32 v19, 3, v0
	s_lshl_b64 s[8:9], s[12:13], 3
	s_mov_b32 s2, s15
	s_delay_alu instid0(VALU_DEP_1)
	v_or_b32_e32 v20, 7, v19
	v_or_b32_e32 v21, 6, v19
	;; [unrolled: 1-line block ×7, first 2 shown]
	v_add_nc_u32_e32 v27, -8, v19
	s_waitcnt lgkmcnt(0)
	s_add_u32 s4, s4, s8
	s_addc_u32 s5, s5, s9
	v_add_co_u32 v5, s3, s4, v19
	s_delay_alu instid0(VALU_DEP_1)
	v_add_co_ci_u32_e64 v6, null, s5, 0, s3
	s_clause 0x1
	global_load_b64 v[3:4], v19, s[4:5]
	global_load_b64 v[1:2], v19, s[4:5] offset:2048
	v_add_co_u32 v7, vcc_lo, 0x1000, v5
	v_add_co_ci_u32_e32 v8, vcc_lo, 0, v6, vcc_lo
	v_add_co_u32 v9, vcc_lo, v5, 0x2000
	v_add_co_ci_u32_e32 v10, vcc_lo, 0, v6, vcc_lo
	;; [unrolled: 2-line block ×4, first 2 shown]
	s_clause 0x5
	global_load_b64 v[5:6], v[9:10], off offset:-4096
	global_load_b64 v[15:16], v[9:10], off
	global_load_b64 v[13:14], v[7:8], off offset:2048
	global_load_b64 v[11:12], v[11:12], off offset:2048
	global_load_b64 v[9:10], v[17:18], off
	global_load_b64 v[7:8], v[17:18], off offset:2048
	s_load_b32 s5, s[0:1], 0x18
	s_mov_b32 s3, s13
	v_cmp_ne_u32_e32 vcc_lo, 0, v0
	s_lshl_b64 s[0:1], s[2:3], 2
	s_delay_alu instid0(SALU_CYCLE_1) | instskip(SKIP_4) | instid1(VALU_DEP_1)
	s_add_u32 s0, s6, s0
	s_addc_u32 s1, s7, s1
	s_waitcnt lgkmcnt(0)
	v_cvt_f32_u32_e32 v17, s5
	s_sub_i32 s3, 0, s5
	v_rcp_iflag_f32_e32 v17, v17
	s_waitcnt_depctr 0xfff
	v_mul_f32_e32 v17, 0x4f7ffffe, v17
	s_delay_alu instid0(VALU_DEP_1) | instskip(NEXT) | instid1(VALU_DEP_1)
	v_cvt_u32_f32_e32 v17, v17
	v_readfirstlane_b32 s2, v17
	s_delay_alu instid0(VALU_DEP_1) | instskip(NEXT) | instid1(SALU_CYCLE_1)
	s_mul_i32 s3, s3, s2
	s_mul_hi_u32 s3, s2, s3
	s_delay_alu instid0(SALU_CYCLE_1) | instskip(NEXT) | instid1(SALU_CYCLE_1)
	s_add_i32 s2, s2, s3
	s_lshr_b32 s2, s2, 21
	s_delay_alu instid0(SALU_CYCLE_1)
	s_mul_i32 s3, s2, s5
	s_add_i32 s6, s2, 1
	s_sub_i32 s4, 0x800, s3
	s_load_b32 s3, s[0:1], 0x0
	s_sub_i32 s7, s4, s5
	s_cmp_ge_u32 s4, s5
	s_cselect_b32 s0, s6, s2
	s_cselect_b32 s1, s7, s4
	s_add_i32 s2, s0, 1
	s_cmp_ge_u32 s1, s5
	s_cselect_b32 s4, s2, s0
	s_max_u32 s5, s5, 1
	s_add_i32 s4, s4, 1
	s_branch .LBB171_2
.LBB171_1:                              ;   in Loop: Header=BB171_2 Depth=1
	s_or_b32 exec_lo, exec_lo, s0
	v_cmp_gt_u32_e64 s0, s3, v20
	v_cmp_gt_u32_e64 s1, s3, v21
	s_add_i32 s5, s5, -1
	s_waitcnt lgkmcnt(0)
	s_barrier
	v_cndmask_b32_e64 v29, 0, v9, s0
	v_cndmask_b32_e64 v28, 0, v10, s0
	;; [unrolled: 1-line block ×3, first 2 shown]
	v_cmp_gt_u32_e64 s0, s3, v22
	v_cndmask_b32_e64 v31, 0, v11, s1
	v_sub_co_u32 v29, s1, v7, v29
	s_delay_alu instid0(VALU_DEP_1)
	v_sub_co_ci_u32_e64 v28, s1, v8, v28, s1
	v_cmp_gt_u32_e64 s1, s3, v23
	v_cndmask_b32_e64 v32, 0, v16, s0
	v_cndmask_b32_e64 v33, 0, v15, s0
	v_cmp_gt_u32_e64 s0, s3, v24
	v_sub_co_u32 v31, s2, v9, v31
	v_cndmask_b32_e64 v35, 0, v13, s1
	v_cndmask_b32_e64 v34, 0, v14, s1
	s_delay_alu instid0(VALU_DEP_4)
	v_cndmask_b32_e64 v37, 0, v5, s0
	v_sub_co_u32 v33, s1, v11, v33
	v_cndmask_b32_e64 v36, 0, v6, s0
	v_sub_co_u32 v35, s0, v15, v35
	v_sub_co_ci_u32_e64 v32, s1, v12, v32, s1
	v_sub_co_ci_u32_e64 v34, s0, v16, v34, s0
	v_sub_co_u32 v37, s1, v13, v37
	v_cmp_gt_u32_e64 s0, s3, v25
	v_sub_co_ci_u32_e64 v36, s1, v14, v36, s1
	v_cmp_gt_u32_e64 s1, s3, v19
	v_sub_co_ci_u32_e64 v30, s2, v10, v30, s2
	s_delay_alu instid0(VALU_DEP_4)
	v_cndmask_b32_e64 v38, 0, v2, s0
	v_cndmask_b32_e64 v39, 0, v1, s0
	v_cmp_gt_u32_e64 s0, s3, v26
	v_cndmask_b32_e64 v17, 0, v17, s1
	v_cndmask_b32_e64 v18, 0, v18, s1
	buffer_gl0_inv
	v_sub_co_u32 v39, s1, v5, v39
	v_cndmask_b32_e64 v41, 0, v3, s0
	v_cndmask_b32_e64 v40, 0, v4, s0
	v_sub_co_u32 v17, s0, v3, v17
	s_delay_alu instid0(VALU_DEP_1) | instskip(NEXT) | instid1(VALU_DEP_4)
	v_sub_co_ci_u32_e64 v18, s0, v4, v18, s0
	v_sub_co_u32 v41, s0, v1, v41
	s_delay_alu instid0(VALU_DEP_1) | instskip(NEXT) | instid1(VALU_DEP_4)
	v_sub_co_ci_u32_e64 v40, s0, v2, v40, s0
	v_add_co_u32 v3, s0, v17, v3
	s_delay_alu instid0(VALU_DEP_1) | instskip(SKIP_2) | instid1(VALU_DEP_1)
	v_add_co_ci_u32_e64 v4, s0, v18, v4, s0
	v_sub_co_ci_u32_e64 v38, s1, v6, v38, s1
	v_add_co_u32 v1, s0, v41, v1
	v_add_co_ci_u32_e64 v2, s0, v40, v2, s0
	v_add_co_u32 v5, s0, v39, v5
	s_delay_alu instid0(VALU_DEP_1) | instskip(SKIP_1) | instid1(VALU_DEP_1)
	v_add_co_ci_u32_e64 v6, s0, v38, v6, s0
	v_add_co_u32 v13, s0, v37, v13
	v_add_co_ci_u32_e64 v14, s0, v36, v14, s0
	v_add_co_u32 v15, s0, v35, v15
	s_delay_alu instid0(VALU_DEP_1) | instskip(SKIP_1) | instid1(VALU_DEP_1)
	v_add_co_ci_u32_e64 v16, s0, v34, v16, s0
	v_add_co_u32 v11, s0, v33, v11
	v_add_co_ci_u32_e64 v12, s0, v32, v12, s0
	v_add_co_u32 v9, s0, v31, v9
	s_delay_alu instid0(VALU_DEP_1)
	v_add_co_ci_u32_e64 v10, s0, v30, v10, s0
	v_add_co_u32 v7, s0, v29, v7
	s_add_i32 s1, s4, s3
	v_add_co_ci_u32_e64 v8, s0, v28, v8, s0
	s_and_b32 s3, s1, 0x7ff
	s_cmp_lg_u32 s5, 0
	s_cbranch_scc0 .LBB171_4
.LBB171_2:                              ; =>This Inner Loop Header: Depth=1
	v_mov_b32_e32 v17, 0x7b
	v_mov_b32_e32 v18, 0
	s_waitcnt vmcnt(0)
	ds_store_b64 v19, v[7:8]
	s_waitcnt lgkmcnt(0)
	s_barrier
	buffer_gl0_inv
	s_and_saveexec_b32 s0, vcc_lo
	s_cbranch_execz .LBB171_1
; %bb.3:                                ;   in Loop: Header=BB171_2 Depth=1
	ds_load_b64 v[17:18], v27
	s_branch .LBB171_1
.LBB171_4:
	v_lshlrev_b32_e32 v0, 3, v0
	s_add_u32 s0, s10, s8
	s_addc_u32 s1, s11, s9
	s_delay_alu instid0(VALU_DEP_1) | instskip(NEXT) | instid1(VALU_DEP_1)
	v_add_co_u32 v23, s2, s0, v0
	v_add_co_ci_u32_e64 v24, null, s1, 0, s2
	s_delay_alu instid0(VALU_DEP_2) | instskip(NEXT) | instid1(VALU_DEP_2)
	v_add_co_u32 v17, vcc_lo, 0x1000, v23
	v_add_co_ci_u32_e32 v18, vcc_lo, 0, v24, vcc_lo
	v_add_co_u32 v19, vcc_lo, v23, 0x2000
	v_add_co_ci_u32_e32 v20, vcc_lo, 0, v24, vcc_lo
	;; [unrolled: 2-line block ×3, first 2 shown]
	global_store_b64 v[19:20], v[15:16], off
	v_add_co_u32 v15, vcc_lo, 0x3000, v23
	v_add_co_ci_u32_e32 v16, vcc_lo, 0, v24, vcc_lo
	s_clause 0x6
	global_store_b64 v0, v[3:4], s[0:1]
	global_store_b64 v0, v[1:2], s[0:1] offset:2048
	global_store_b64 v[17:18], v[13:14], off offset:2048
	global_store_b64 v[21:22], v[11:12], off offset:2048
	global_store_b64 v[15:16], v[9:10], off
	global_store_b64 v[19:20], v[5:6], off offset:-4096
	global_store_b64 v[15:16], v[7:8], off offset:2048
	s_nop 0
	s_sendmsg sendmsg(MSG_DEALLOC_VGPRS)
	s_endpgm
	.section	.rodata,"a",@progbits
	.p2align	6, 0x0
	.amdhsa_kernel _Z6kernelI26subtract_left_partial_tileLj256ELj8ELb1EJPxPiS1_jEEvDpT3_
		.amdhsa_group_segment_fixed_size 4096
		.amdhsa_private_segment_fixed_size 0
		.amdhsa_kernarg_size 28
		.amdhsa_user_sgpr_count 15
		.amdhsa_user_sgpr_dispatch_ptr 0
		.amdhsa_user_sgpr_queue_ptr 0
		.amdhsa_user_sgpr_kernarg_segment_ptr 1
		.amdhsa_user_sgpr_dispatch_id 0
		.amdhsa_user_sgpr_private_segment_size 0
		.amdhsa_wavefront_size32 1
		.amdhsa_uses_dynamic_stack 0
		.amdhsa_enable_private_segment 0
		.amdhsa_system_sgpr_workgroup_id_x 1
		.amdhsa_system_sgpr_workgroup_id_y 0
		.amdhsa_system_sgpr_workgroup_id_z 0
		.amdhsa_system_sgpr_workgroup_info 0
		.amdhsa_system_vgpr_workitem_id 0
		.amdhsa_next_free_vgpr 42
		.amdhsa_next_free_sgpr 16
		.amdhsa_reserve_vcc 1
		.amdhsa_float_round_mode_32 0
		.amdhsa_float_round_mode_16_64 0
		.amdhsa_float_denorm_mode_32 3
		.amdhsa_float_denorm_mode_16_64 3
		.amdhsa_dx10_clamp 1
		.amdhsa_ieee_mode 1
		.amdhsa_fp16_overflow 0
		.amdhsa_workgroup_processor_mode 1
		.amdhsa_memory_ordered 1
		.amdhsa_forward_progress 0
		.amdhsa_shared_vgpr_count 0
		.amdhsa_exception_fp_ieee_invalid_op 0
		.amdhsa_exception_fp_denorm_src 0
		.amdhsa_exception_fp_ieee_div_zero 0
		.amdhsa_exception_fp_ieee_overflow 0
		.amdhsa_exception_fp_ieee_underflow 0
		.amdhsa_exception_fp_ieee_inexact 0
		.amdhsa_exception_int_div_zero 0
	.end_amdhsa_kernel
	.section	.text._Z6kernelI26subtract_left_partial_tileLj256ELj8ELb1EJPxPiS1_jEEvDpT3_,"axG",@progbits,_Z6kernelI26subtract_left_partial_tileLj256ELj8ELb1EJPxPiS1_jEEvDpT3_,comdat
.Lfunc_end171:
	.size	_Z6kernelI26subtract_left_partial_tileLj256ELj8ELb1EJPxPiS1_jEEvDpT3_, .Lfunc_end171-_Z6kernelI26subtract_left_partial_tileLj256ELj8ELb1EJPxPiS1_jEEvDpT3_
                                        ; -- End function
	.section	.AMDGPU.csdata,"",@progbits
; Kernel info:
; codeLenInByte = 1176
; NumSgprs: 18
; NumVgprs: 42
; ScratchSize: 0
; MemoryBound: 0
; FloatMode: 240
; IeeeMode: 1
; LDSByteSize: 4096 bytes/workgroup (compile time only)
; SGPRBlocks: 2
; VGPRBlocks: 5
; NumSGPRsForWavesPerEU: 18
; NumVGPRsForWavesPerEU: 42
; Occupancy: 16
; WaveLimiterHint : 1
; COMPUTE_PGM_RSRC2:SCRATCH_EN: 0
; COMPUTE_PGM_RSRC2:USER_SGPR: 15
; COMPUTE_PGM_RSRC2:TRAP_HANDLER: 0
; COMPUTE_PGM_RSRC2:TGID_X_EN: 1
; COMPUTE_PGM_RSRC2:TGID_Y_EN: 0
; COMPUTE_PGM_RSRC2:TGID_Z_EN: 0
; COMPUTE_PGM_RSRC2:TIDIG_COMP_CNT: 0
	.section	.text._Z6kernelI26subtract_left_partial_tileLj256ELj16ELb1EJPxPiS1_jEEvDpT3_,"axG",@progbits,_Z6kernelI26subtract_left_partial_tileLj256ELj16ELb1EJPxPiS1_jEEvDpT3_,comdat
	.protected	_Z6kernelI26subtract_left_partial_tileLj256ELj16ELb1EJPxPiS1_jEEvDpT3_ ; -- Begin function _Z6kernelI26subtract_left_partial_tileLj256ELj16ELb1EJPxPiS1_jEEvDpT3_
	.globl	_Z6kernelI26subtract_left_partial_tileLj256ELj16ELb1EJPxPiS1_jEEvDpT3_
	.p2align	8
	.type	_Z6kernelI26subtract_left_partial_tileLj256ELj16ELb1EJPxPiS1_jEEvDpT3_,@function
_Z6kernelI26subtract_left_partial_tileLj256ELj16ELb1EJPxPiS1_jEEvDpT3_: ; @_Z6kernelI26subtract_left_partial_tileLj256ELj16ELb1EJPxPiS1_jEEvDpT3_
; %bb.0:
	s_clause 0x1
	s_load_b128 s[4:7], s[0:1], 0x0
	s_load_b64 s[10:11], s[0:1], 0x10
	s_mov_b32 s13, 0
	s_lshl_b32 s12, s15, 12
	v_lshlrev_b32_e32 v35, 3, v0
	s_lshl_b64 s[8:9], s[12:13], 3
	s_mov_b32 s2, s15
	v_lshlrev_b32_e32 v36, 4, v0
	s_delay_alu instid0(VALU_DEP_2) | instskip(NEXT) | instid1(VALU_DEP_2)
	v_add_nc_u32_e32 v52, -8, v35
	v_or_b32_e32 v37, 15, v36
	v_or_b32_e32 v38, 14, v36
	;; [unrolled: 1-line block ×8, first 2 shown]
	s_waitcnt lgkmcnt(0)
	s_add_u32 s4, s4, s8
	s_addc_u32 s5, s5, s9
	v_add_co_u32 v21, s3, s4, v35
	s_delay_alu instid0(VALU_DEP_1)
	v_add_co_ci_u32_e64 v22, null, s5, 0, s3
	s_clause 0x1
	global_load_b64 v[11:12], v35, s[4:5]
	global_load_b64 v[9:10], v35, s[4:5] offset:2048
	v_add_co_u32 v3, vcc_lo, 0x1000, v21
	v_add_co_ci_u32_e32 v4, vcc_lo, 0, v22, vcc_lo
	v_add_co_u32 v5, vcc_lo, v21, 0x2000
	v_add_co_ci_u32_e32 v6, vcc_lo, 0, v22, vcc_lo
	;; [unrolled: 2-line block ×6, first 2 shown]
	s_clause 0x7
	global_load_b64 v[1:2], v[5:6], off offset:-4096
	global_load_b64 v[27:28], v[5:6], off
	global_load_b64 v[7:8], v[13:14], off offset:-4096
	global_load_b64 v[13:14], v[13:14], off
	global_load_b64 v[31:32], v[3:4], off offset:2048
	global_load_b64 v[29:30], v[15:16], off offset:2048
	;; [unrolled: 1-line block ×4, first 2 shown]
	v_add_co_u32 v15, vcc_lo, 0x5000, v21
	v_add_co_ci_u32_e32 v16, vcc_lo, 0, v22, vcc_lo
	v_add_co_u32 v17, vcc_lo, v21, 0x6000
	v_add_co_ci_u32_e32 v18, vcc_lo, 0, v22, vcc_lo
	;; [unrolled: 2-line block ×4, first 2 shown]
	s_clause 0x5
	global_load_b64 v[25:26], v[17:18], off offset:-4096
	global_load_b64 v[23:24], v[17:18], off
	global_load_b64 v[21:22], v[15:16], off offset:2048
	global_load_b64 v[19:20], v[19:20], off offset:2048
	global_load_b64 v[17:18], v[33:34], off
	global_load_b64 v[15:16], v[33:34], off offset:2048
	s_load_b32 s5, s[0:1], 0x18
	s_mov_b32 s3, s13
	v_or_b32_e32 v45, 7, v36
	s_lshl_b64 s[0:1], s[2:3], 2
	v_or_b32_e32 v46, 6, v36
	s_add_u32 s0, s6, s0
	s_addc_u32 s1, s7, s1
	v_or_b32_e32 v47, 5, v36
	v_or_b32_e32 v48, 4, v36
	v_or_b32_e32 v49, 3, v36
	v_or_b32_e32 v50, 2, v36
	v_or_b32_e32 v51, 1, v36
	v_cmp_ne_u32_e32 vcc_lo, 0, v0
	s_waitcnt lgkmcnt(0)
	v_cvt_f32_u32_e32 v33, s5
	s_sub_i32 s3, 0, s5
	s_delay_alu instid0(VALU_DEP_1) | instskip(SKIP_2) | instid1(VALU_DEP_1)
	v_rcp_iflag_f32_e32 v33, v33
	s_waitcnt_depctr 0xfff
	v_mul_f32_e32 v33, 0x4f7ffffe, v33
	v_cvt_u32_f32_e32 v33, v33
	s_delay_alu instid0(VALU_DEP_1) | instskip(NEXT) | instid1(VALU_DEP_1)
	v_readfirstlane_b32 s2, v33
	s_mul_i32 s3, s3, s2
	s_delay_alu instid0(SALU_CYCLE_1) | instskip(NEXT) | instid1(SALU_CYCLE_1)
	s_mul_hi_u32 s3, s2, s3
	s_add_i32 s2, s2, s3
	s_delay_alu instid0(SALU_CYCLE_1) | instskip(NEXT) | instid1(SALU_CYCLE_1)
	s_lshr_b32 s2, s2, 20
	s_mul_i32 s3, s2, s5
	s_add_i32 s4, s2, 1
	s_sub_i32 s3, 0x1000, s3
	s_delay_alu instid0(SALU_CYCLE_1)
	s_sub_i32 s6, s3, s5
	s_cmp_ge_u32 s3, s5
	s_cselect_b32 s2, s4, s2
	s_cselect_b32 s3, s6, s3
	s_add_i32 s4, s2, 1
	s_cmp_ge_u32 s3, s5
	s_load_b32 s3, s[0:1], 0x0
	s_cselect_b32 s4, s4, s2
	s_max_u32 s5, s5, 1
	s_add_i32 s4, s4, 1
	s_branch .LBB172_2
.LBB172_1:                              ;   in Loop: Header=BB172_2 Depth=1
	s_or_b32 exec_lo, exec_lo, s0
	v_cmp_gt_u32_e64 s0, s3, v37
	v_cmp_gt_u32_e64 s1, s3, v38
	s_add_i32 s5, s5, -1
	s_waitcnt lgkmcnt(0)
	s_barrier
	v_cndmask_b32_e64 v53, 0, v18, s0
	v_cndmask_b32_e64 v54, 0, v17, s0
	v_cmp_gt_u32_e64 s0, s3, v39
	v_cndmask_b32_e64 v56, 0, v19, s1
	v_cndmask_b32_e64 v55, 0, v20, s1
	buffer_gl0_inv
	v_sub_co_u32 v54, s1, v15, v54
	v_cndmask_b32_e64 v57, 0, v24, s0
	v_cndmask_b32_e64 v58, 0, v23, s0
	v_cmp_gt_u32_e64 s0, s3, v40
	v_sub_co_ci_u32_e64 v53, s1, v16, v53, s1
	v_sub_co_u32 v56, s1, v17, v56
	s_delay_alu instid0(VALU_DEP_3)
	v_cndmask_b32_e64 v59, 0, v22, s0
	v_cndmask_b32_e64 v60, 0, v21, s0
	v_sub_co_u32 v58, s0, v19, v58
	v_sub_co_ci_u32_e64 v55, s1, v18, v55, s1
	v_sub_co_ci_u32_e64 v57, s0, v20, v57, s0
	v_cmp_gt_u32_e64 s0, s3, v41
	v_cmp_gt_u32_e64 s1, s3, v42
	v_sub_co_u32 v60, s2, v23, v60
	s_delay_alu instid0(VALU_DEP_1) | instskip(NEXT) | instid1(VALU_DEP_4)
	v_sub_co_ci_u32_e64 v59, s2, v24, v59, s2
	v_cndmask_b32_e64 v61, 0, v26, s0
	v_cndmask_b32_e64 v62, 0, v25, s0
	;; [unrolled: 1-line block ×3, first 2 shown]
	v_cmp_gt_u32_e64 s0, s3, v43
	v_cndmask_b32_e64 v63, 0, v4, s1
	s_delay_alu instid0(VALU_DEP_4) | instskip(NEXT) | instid1(VALU_DEP_3)
	v_sub_co_u32 v62, s1, v21, v62
	v_cndmask_b32_e64 v65, 0, v14, s0
	v_cndmask_b32_e64 v66, 0, v13, s0
	v_sub_co_u32 v64, s0, v25, v64
	v_sub_co_ci_u32_e64 v61, s1, v22, v61, s1
	v_sub_co_ci_u32_e64 v63, s0, v26, v63, s0
	v_cmp_gt_u32_e64 s0, s3, v44
	v_cmp_gt_u32_e64 s1, s3, v45
	v_sub_co_u32 v66, s2, v3, v66
	s_delay_alu instid0(VALU_DEP_1) | instskip(NEXT) | instid1(VALU_DEP_4)
	v_sub_co_ci_u32_e64 v65, s2, v4, v65, s2
	v_cndmask_b32_e64 v67, 0, v6, s0
	v_cndmask_b32_e64 v68, 0, v5, s0
	;; [unrolled: 1-line block ×3, first 2 shown]
	v_cmp_gt_u32_e64 s0, s3, v46
	v_cndmask_b32_e64 v69, 0, v8, s1
	s_delay_alu instid0(VALU_DEP_4) | instskip(NEXT) | instid1(VALU_DEP_3)
	v_sub_co_u32 v68, s1, v13, v68
	v_cndmask_b32_e64 v71, 0, v30, s0
	v_cndmask_b32_e64 v72, 0, v29, s0
	v_sub_co_u32 v70, s0, v5, v70
	s_delay_alu instid0(VALU_DEP_1) | instskip(SKIP_4) | instid1(VALU_DEP_4)
	v_sub_co_ci_u32_e64 v69, s0, v6, v69, s0
	v_cmp_gt_u32_e64 s0, s3, v47
	v_sub_co_ci_u32_e64 v67, s1, v14, v67, s1
	v_cmp_gt_u32_e64 s1, s3, v48
	v_sub_co_u32 v72, s2, v7, v72
	v_cndmask_b32_e64 v73, 0, v28, s0
	v_cndmask_b32_e64 v74, 0, v27, s0
	v_cmp_gt_u32_e64 s0, s3, v49
	v_cndmask_b32_e64 v76, 0, v31, s1
	v_cndmask_b32_e64 v75, 0, v32, s1
	v_sub_co_ci_u32_e64 v71, s2, v8, v71, s2
	s_delay_alu instid0(VALU_DEP_4)
	v_cndmask_b32_e64 v78, 0, v1, s0
	v_sub_co_u32 v74, s1, v29, v74
	v_cndmask_b32_e64 v77, 0, v2, s0
	v_sub_co_u32 v76, s0, v27, v76
	v_sub_co_ci_u32_e64 v73, s1, v30, v73, s1
	v_sub_co_ci_u32_e64 v75, s0, v28, v75, s0
	v_sub_co_u32 v78, s1, v31, v78
	v_cmp_gt_u32_e64 s0, s3, v50
	v_sub_co_ci_u32_e64 v77, s1, v32, v77, s1
	v_cmp_gt_u32_e64 s1, s3, v36
	s_delay_alu instid0(VALU_DEP_3) | instskip(SKIP_2) | instid1(VALU_DEP_4)
	v_cndmask_b32_e64 v79, 0, v10, s0
	v_cndmask_b32_e64 v80, 0, v9, s0
	v_cmp_gt_u32_e64 s0, s3, v51
	v_cndmask_b32_e64 v33, 0, v33, s1
	v_cndmask_b32_e64 v34, 0, v34, s1
	s_delay_alu instid0(VALU_DEP_4) | instskip(NEXT) | instid1(VALU_DEP_4)
	v_sub_co_u32 v80, s1, v1, v80
	v_cndmask_b32_e64 v82, 0, v11, s0
	v_cndmask_b32_e64 v81, 0, v12, s0
	v_sub_co_u32 v33, s0, v11, v33
	s_delay_alu instid0(VALU_DEP_1) | instskip(NEXT) | instid1(VALU_DEP_4)
	v_sub_co_ci_u32_e64 v34, s0, v12, v34, s0
	v_sub_co_u32 v82, s0, v9, v82
	s_delay_alu instid0(VALU_DEP_1) | instskip(NEXT) | instid1(VALU_DEP_4)
	v_sub_co_ci_u32_e64 v81, s0, v10, v81, s0
	v_add_co_u32 v11, s0, v33, v11
	s_delay_alu instid0(VALU_DEP_1) | instskip(SKIP_2) | instid1(VALU_DEP_1)
	v_add_co_ci_u32_e64 v12, s0, v34, v12, s0
	v_sub_co_ci_u32_e64 v79, s1, v2, v79, s1
	v_add_co_u32 v9, s0, v82, v9
	v_add_co_ci_u32_e64 v10, s0, v81, v10, s0
	v_add_co_u32 v1, s0, v80, v1
	s_delay_alu instid0(VALU_DEP_1) | instskip(SKIP_1) | instid1(VALU_DEP_1)
	v_add_co_ci_u32_e64 v2, s0, v79, v2, s0
	v_add_co_u32 v31, s0, v78, v31
	v_add_co_ci_u32_e64 v32, s0, v77, v32, s0
	v_add_co_u32 v27, s0, v76, v27
	s_delay_alu instid0(VALU_DEP_1) | instskip(SKIP_1) | instid1(VALU_DEP_1)
	v_add_co_ci_u32_e64 v28, s0, v75, v28, s0
	;; [unrolled: 5-line block ×6, first 2 shown]
	v_add_co_u32 v19, s0, v58, v19
	v_add_co_ci_u32_e64 v20, s0, v57, v20, s0
	v_add_co_u32 v17, s0, v56, v17
	s_delay_alu instid0(VALU_DEP_1)
	v_add_co_ci_u32_e64 v18, s0, v55, v18, s0
	v_add_co_u32 v15, s0, v54, v15
	s_add_i32 s1, s4, s3
	v_add_co_ci_u32_e64 v16, s0, v53, v16, s0
	s_and_b32 s3, s1, 0xfff
	s_cmp_lg_u32 s5, 0
	s_cbranch_scc0 .LBB172_4
.LBB172_2:                              ; =>This Inner Loop Header: Depth=1
	v_mov_b32_e32 v33, 0x7b
	v_mov_b32_e32 v34, 0
	s_waitcnt vmcnt(0)
	ds_store_b64 v35, v[15:16]
	s_waitcnt lgkmcnt(0)
	s_barrier
	buffer_gl0_inv
	s_and_saveexec_b32 s0, vcc_lo
	s_cbranch_execz .LBB172_1
; %bb.3:                                ;   in Loop: Header=BB172_2 Depth=1
	ds_load_b64 v[33:34], v52
	s_branch .LBB172_1
.LBB172_4:
	v_lshlrev_b32_e32 v0, 3, v0
	s_add_u32 s0, s10, s8
	s_addc_u32 s1, s11, s9
	s_delay_alu instid0(VALU_DEP_1) | instskip(NEXT) | instid1(VALU_DEP_1)
	v_add_co_u32 v39, s2, s0, v0
	v_add_co_ci_u32_e64 v40, null, s1, 0, s2
	s_delay_alu instid0(VALU_DEP_2) | instskip(NEXT) | instid1(VALU_DEP_2)
	v_add_co_u32 v33, vcc_lo, 0x1000, v39
	v_add_co_ci_u32_e32 v34, vcc_lo, 0, v40, vcc_lo
	v_add_co_u32 v35, vcc_lo, v39, 0x2000
	v_add_co_ci_u32_e32 v36, vcc_lo, 0, v40, vcc_lo
	;; [unrolled: 2-line block ×3, first 2 shown]
	s_clause 0x4
	global_store_b64 v[35:36], v[27:28], off
	global_store_b64 v0, v[11:12], s[0:1]
	global_store_b64 v0, v[9:10], s[0:1] offset:2048
	global_store_b64 v[33:34], v[31:32], off offset:2048
	global_store_b64 v[37:38], v[29:30], off offset:2048
	v_add_co_u32 v9, vcc_lo, 0x3000, v39
	v_add_co_ci_u32_e32 v10, vcc_lo, 0, v40, vcc_lo
	v_add_co_u32 v11, vcc_lo, v39, 0x4000
	v_add_co_ci_u32_e32 v12, vcc_lo, 0, v40, vcc_lo
	;; [unrolled: 2-line block ×6, first 2 shown]
	s_clause 0x3
	global_store_b64 v[11:12], v[7:8], off offset:-4096
	global_store_b64 v[11:12], v[13:14], off
	global_store_b64 v[31:32], v[25:26], off offset:-4096
	global_store_b64 v[31:32], v[23:24], off
	v_add_co_u32 v7, vcc_lo, 0x7000, v39
	v_add_co_ci_u32_e32 v8, vcc_lo, 0, v40, vcc_lo
	s_clause 0x6
	global_store_b64 v[9:10], v[5:6], off offset:2048
	global_store_b64 v[27:28], v[3:4], off offset:2048
	;; [unrolled: 1-line block ×4, first 2 shown]
	global_store_b64 v[7:8], v[17:18], off
	global_store_b64 v[35:36], v[1:2], off offset:-4096
	global_store_b64 v[7:8], v[15:16], off offset:2048
	s_nop 0
	s_sendmsg sendmsg(MSG_DEALLOC_VGPRS)
	s_endpgm
	.section	.rodata,"a",@progbits
	.p2align	6, 0x0
	.amdhsa_kernel _Z6kernelI26subtract_left_partial_tileLj256ELj16ELb1EJPxPiS1_jEEvDpT3_
		.amdhsa_group_segment_fixed_size 4096
		.amdhsa_private_segment_fixed_size 0
		.amdhsa_kernarg_size 28
		.amdhsa_user_sgpr_count 15
		.amdhsa_user_sgpr_dispatch_ptr 0
		.amdhsa_user_sgpr_queue_ptr 0
		.amdhsa_user_sgpr_kernarg_segment_ptr 1
		.amdhsa_user_sgpr_dispatch_id 0
		.amdhsa_user_sgpr_private_segment_size 0
		.amdhsa_wavefront_size32 1
		.amdhsa_uses_dynamic_stack 0
		.amdhsa_enable_private_segment 0
		.amdhsa_system_sgpr_workgroup_id_x 1
		.amdhsa_system_sgpr_workgroup_id_y 0
		.amdhsa_system_sgpr_workgroup_id_z 0
		.amdhsa_system_sgpr_workgroup_info 0
		.amdhsa_system_vgpr_workitem_id 0
		.amdhsa_next_free_vgpr 83
		.amdhsa_next_free_sgpr 16
		.amdhsa_reserve_vcc 1
		.amdhsa_float_round_mode_32 0
		.amdhsa_float_round_mode_16_64 0
		.amdhsa_float_denorm_mode_32 3
		.amdhsa_float_denorm_mode_16_64 3
		.amdhsa_dx10_clamp 1
		.amdhsa_ieee_mode 1
		.amdhsa_fp16_overflow 0
		.amdhsa_workgroup_processor_mode 1
		.amdhsa_memory_ordered 1
		.amdhsa_forward_progress 0
		.amdhsa_shared_vgpr_count 0
		.amdhsa_exception_fp_ieee_invalid_op 0
		.amdhsa_exception_fp_denorm_src 0
		.amdhsa_exception_fp_ieee_div_zero 0
		.amdhsa_exception_fp_ieee_overflow 0
		.amdhsa_exception_fp_ieee_underflow 0
		.amdhsa_exception_fp_ieee_inexact 0
		.amdhsa_exception_int_div_zero 0
	.end_amdhsa_kernel
	.section	.text._Z6kernelI26subtract_left_partial_tileLj256ELj16ELb1EJPxPiS1_jEEvDpT3_,"axG",@progbits,_Z6kernelI26subtract_left_partial_tileLj256ELj16ELb1EJPxPiS1_jEEvDpT3_,comdat
.Lfunc_end172:
	.size	_Z6kernelI26subtract_left_partial_tileLj256ELj16ELb1EJPxPiS1_jEEvDpT3_, .Lfunc_end172-_Z6kernelI26subtract_left_partial_tileLj256ELj16ELb1EJPxPiS1_jEEvDpT3_
                                        ; -- End function
	.section	.AMDGPU.csdata,"",@progbits
; Kernel info:
; codeLenInByte = 2032
; NumSgprs: 18
; NumVgprs: 83
; ScratchSize: 0
; MemoryBound: 0
; FloatMode: 240
; IeeeMode: 1
; LDSByteSize: 4096 bytes/workgroup (compile time only)
; SGPRBlocks: 2
; VGPRBlocks: 10
; NumSGPRsForWavesPerEU: 18
; NumVGPRsForWavesPerEU: 83
; Occupancy: 16
; WaveLimiterHint : 1
; COMPUTE_PGM_RSRC2:SCRATCH_EN: 0
; COMPUTE_PGM_RSRC2:USER_SGPR: 15
; COMPUTE_PGM_RSRC2:TRAP_HANDLER: 0
; COMPUTE_PGM_RSRC2:TGID_X_EN: 1
; COMPUTE_PGM_RSRC2:TGID_Y_EN: 0
; COMPUTE_PGM_RSRC2:TGID_Z_EN: 0
; COMPUTE_PGM_RSRC2:TIDIG_COMP_CNT: 0
	.section	.text._Z6kernelI26subtract_left_partial_tileLj256ELj32ELb1EJPxPiS1_jEEvDpT3_,"axG",@progbits,_Z6kernelI26subtract_left_partial_tileLj256ELj32ELb1EJPxPiS1_jEEvDpT3_,comdat
	.protected	_Z6kernelI26subtract_left_partial_tileLj256ELj32ELb1EJPxPiS1_jEEvDpT3_ ; -- Begin function _Z6kernelI26subtract_left_partial_tileLj256ELj32ELb1EJPxPiS1_jEEvDpT3_
	.globl	_Z6kernelI26subtract_left_partial_tileLj256ELj32ELb1EJPxPiS1_jEEvDpT3_
	.p2align	8
	.type	_Z6kernelI26subtract_left_partial_tileLj256ELj32ELb1EJPxPiS1_jEEvDpT3_,@function
_Z6kernelI26subtract_left_partial_tileLj256ELj32ELb1EJPxPiS1_jEEvDpT3_: ; @_Z6kernelI26subtract_left_partial_tileLj256ELj32ELb1EJPxPiS1_jEEvDpT3_
; %bb.0:
	s_clause 0x1
	s_load_b128 s[4:7], s[0:1], 0x0
	s_load_b64 s[10:11], s[0:1], 0x10
	s_mov_b32 s13, 0
	s_lshl_b32 s12, s15, 13
	v_lshlrev_b32_e32 v67, 3, v0
	s_lshl_b64 s[8:9], s[12:13], 3
	s_mov_b32 s2, s15
	v_lshlrev_b32_e32 v68, 5, v0
	s_delay_alu instid0(VALU_DEP_2) | instskip(NEXT) | instid1(VALU_DEP_2)
	v_add_nc_u32_e32 v100, -8, v67
	v_or_b32_e32 v69, 31, v68
	v_or_b32_e32 v70, 30, v68
	;; [unrolled: 1-line block ×8, first 2 shown]
	s_waitcnt lgkmcnt(0)
	s_add_u32 s4, s4, s8
	s_addc_u32 s5, s5, s9
	v_add_co_u32 v49, s3, s4, v67
	s_delay_alu instid0(VALU_DEP_1) | instskip(SKIP_1) | instid1(VALU_DEP_2)
	v_add_co_ci_u32_e64 v50, null, s5, 0, s3
	s_mov_b32 s3, s13
	v_add_co_u32 v3, vcc_lo, 0x1000, v49
	s_delay_alu instid0(VALU_DEP_2)
	v_add_co_ci_u32_e32 v4, vcc_lo, 0, v50, vcc_lo
	v_add_co_u32 v5, vcc_lo, v49, 0x2000
	v_add_co_ci_u32_e32 v6, vcc_lo, 0, v50, vcc_lo
	v_add_co_u32 v7, vcc_lo, 0x2000, v49
	v_add_co_ci_u32_e32 v8, vcc_lo, 0, v50, vcc_lo
	v_add_co_u32 v9, vcc_lo, 0x3000, v49
	v_add_co_ci_u32_e32 v10, vcc_lo, 0, v50, vcc_lo
	v_add_co_u32 v11, vcc_lo, v49, 0x4000
	v_add_co_ci_u32_e32 v12, vcc_lo, 0, v50, vcc_lo
	v_add_co_u32 v15, vcc_lo, 0x4000, v49
	v_add_co_ci_u32_e32 v16, vcc_lo, 0, v50, vcc_lo
	s_clause 0x7
	global_load_b64 v[1:2], v[5:6], off offset:-4096
	global_load_b64 v[21:22], v[5:6], off
	global_load_b64 v[13:14], v[11:12], off offset:-4096
	global_load_b64 v[17:18], v[11:12], off
	global_load_b64 v[31:32], v[3:4], off offset:2048
	global_load_b64 v[29:30], v[7:8], off offset:2048
	global_load_b64 v[11:12], v[9:10], off offset:2048
	global_load_b64 v[9:10], v[15:16], off offset:2048
	v_add_co_u32 v3, vcc_lo, 0x5000, v49
	v_add_co_ci_u32_e32 v4, vcc_lo, 0, v50, vcc_lo
	v_add_co_u32 v5, vcc_lo, v49, 0x6000
	v_add_co_ci_u32_e32 v6, vcc_lo, 0, v50, vcc_lo
	v_add_co_u32 v23, vcc_lo, 0x6000, v49
	v_add_co_ci_u32_e32 v24, vcc_lo, 0, v50, vcc_lo
	v_add_co_u32 v33, vcc_lo, 0x7000, v49
	v_add_co_ci_u32_e32 v34, vcc_lo, 0, v50, vcc_lo
	v_add_co_u32 v15, vcc_lo, v49, 0x8000
	v_add_co_ci_u32_e32 v16, vcc_lo, 0, v50, vcc_lo
	v_add_co_u32 v35, vcc_lo, 0x8000, v49
	v_add_co_ci_u32_e32 v36, vcc_lo, 0, v50, vcc_lo
	s_clause 0x7
	global_load_b64 v[27:28], v[5:6], off offset:-4096
	global_load_b64 v[19:20], v[5:6], off
	global_load_b64 v[7:8], v[15:16], off offset:-4096
	global_load_b64 v[15:16], v[15:16], off
	global_load_b64 v[25:26], v[3:4], off offset:2048
	global_load_b64 v[23:24], v[23:24], off offset:2048
	global_load_b64 v[5:6], v[33:34], off offset:2048
	global_load_b64 v[3:4], v[35:36], off offset:2048
	v_add_co_u32 v33, vcc_lo, 0x9000, v49
	;; [unrolled: 21-line block ×3, first 2 shown]
	v_add_co_ci_u32_e32 v42, vcc_lo, 0, v50, vcc_lo
	v_add_co_u32 v43, vcc_lo, v49, 0xe000
	v_add_co_ci_u32_e32 v44, vcc_lo, 0, v50, vcc_lo
	v_add_co_u32 v47, vcc_lo, 0xe000, v49
	v_add_co_ci_u32_e32 v48, vcc_lo, 0, v50, vcc_lo
	v_add_co_u32 v61, vcc_lo, 0xf000, v49
	v_add_co_ci_u32_e32 v62, vcc_lo, 0, v50, vcc_lo
	s_clause 0x7
	global_load_b64 v[51:52], v[43:44], off offset:-4096
	global_load_b64 v[45:46], v[43:44], off
	global_load_b64 v[49:50], v[41:42], off offset:2048
	global_load_b64 v[47:48], v[47:48], off offset:2048
	global_load_b64 v[43:44], v[61:62], off
	global_load_b64 v[41:42], v[61:62], off offset:2048
	global_load_b64 v[63:64], v67, s[4:5]
	global_load_b64 v[61:62], v67, s[4:5] offset:2048
	s_load_b32 s5, s[0:1], 0x18
	s_lshl_b64 s[0:1], s[2:3], 2
	v_or_b32_e32 v77, 23, v68
	s_add_u32 s0, s6, s0
	s_addc_u32 s1, s7, s1
	v_or_b32_e32 v78, 22, v68
	v_or_b32_e32 v79, 21, v68
	;; [unrolled: 1-line block ×13, first 2 shown]
	v_cmp_ne_u32_e32 vcc_lo, 0, v0
	v_or_b32_e32 v91, 9, v68
	s_waitcnt lgkmcnt(0)
	v_cvt_f32_u32_e32 v65, s5
	s_sub_i32 s3, 0, s5
	v_or_b32_e32 v92, 8, v68
	v_or_b32_e32 v93, 7, v68
	;; [unrolled: 1-line block ×3, first 2 shown]
	v_rcp_iflag_f32_e32 v65, v65
	v_or_b32_e32 v95, 5, v68
	v_or_b32_e32 v96, 4, v68
	;; [unrolled: 1-line block ×5, first 2 shown]
	s_waitcnt_depctr 0xfff
	v_mul_f32_e32 v65, 0x4f7ffffe, v65
	s_delay_alu instid0(VALU_DEP_1) | instskip(NEXT) | instid1(VALU_DEP_1)
	v_cvt_u32_f32_e32 v65, v65
	v_readfirstlane_b32 s2, v65
	s_delay_alu instid0(VALU_DEP_1) | instskip(NEXT) | instid1(SALU_CYCLE_1)
	s_mul_i32 s3, s3, s2
	s_mul_hi_u32 s3, s2, s3
	s_delay_alu instid0(SALU_CYCLE_1) | instskip(NEXT) | instid1(SALU_CYCLE_1)
	s_add_i32 s2, s2, s3
	s_lshr_b32 s2, s2, 19
	s_delay_alu instid0(SALU_CYCLE_1) | instskip(SKIP_2) | instid1(SALU_CYCLE_1)
	s_mul_i32 s3, s2, s5
	s_add_i32 s4, s2, 1
	s_sub_i32 s3, 0x2000, s3
	s_sub_i32 s6, s3, s5
	s_cmp_ge_u32 s3, s5
	s_cselect_b32 s2, s4, s2
	s_cselect_b32 s3, s6, s3
	s_add_i32 s4, s2, 1
	s_cmp_ge_u32 s3, s5
	s_load_b32 s3, s[0:1], 0x0
	s_cselect_b32 s4, s4, s2
	s_max_u32 s5, s5, 1
	s_add_i32 s4, s4, 1
	s_branch .LBB173_2
.LBB173_1:                              ;   in Loop: Header=BB173_2 Depth=1
	s_or_b32 exec_lo, exec_lo, s0
	v_cmp_gt_u32_e64 s0, s3, v69
	v_cmp_gt_u32_e64 s1, s3, v70
	s_add_i32 s5, s5, -1
	s_waitcnt lgkmcnt(0)
	s_barrier
	v_cndmask_b32_e64 v101, 0, v44, s0
	v_cndmask_b32_e64 v102, 0, v43, s0
	v_cmp_gt_u32_e64 s0, s3, v71
	v_cndmask_b32_e64 v104, 0, v47, s1
	v_cndmask_b32_e64 v103, 0, v48, s1
	buffer_gl0_inv
	v_sub_co_u32 v102, s1, v41, v102
	v_cndmask_b32_e64 v105, 0, v46, s0
	v_cndmask_b32_e64 v106, 0, v45, s0
	v_cmp_gt_u32_e64 s0, s3, v72
	v_sub_co_ci_u32_e64 v101, s1, v42, v101, s1
	v_sub_co_u32 v104, s1, v43, v104
	s_delay_alu instid0(VALU_DEP_3) | instskip(SKIP_2) | instid1(VALU_DEP_1)
	v_cndmask_b32_e64 v107, 0, v50, s0
	v_cndmask_b32_e64 v108, 0, v49, s0
	v_sub_co_u32 v106, s0, v47, v106
	v_sub_co_ci_u32_e64 v105, s0, v48, v105, s0
	v_cmp_gt_u32_e64 s0, s3, v73
	v_sub_co_ci_u32_e64 v103, s1, v44, v103, s1
	v_cmp_gt_u32_e64 s1, s3, v74
	v_sub_co_u32 v108, s2, v45, v108
	s_delay_alu instid0(VALU_DEP_4)
	v_cndmask_b32_e64 v109, 0, v52, s0
	v_cndmask_b32_e64 v110, 0, v51, s0
	v_cmp_gt_u32_e64 s0, s3, v75
	v_cndmask_b32_e64 v112, 0, v33, s1
	v_cndmask_b32_e64 v111, 0, v34, s1
	v_sub_co_ci_u32_e64 v107, s2, v46, v107, s2
	s_delay_alu instid0(VALU_DEP_4)
	v_cndmask_b32_e64 v114, 0, v37, s0
	v_sub_co_u32 v110, s1, v49, v110
	v_cndmask_b32_e64 v113, 0, v38, s0
	v_sub_co_ci_u32_e64 v109, s1, v50, v109, s1
	v_sub_co_u32 v112, s0, v51, v112
	v_sub_co_u32 v114, s1, v33, v114
	v_sub_co_ci_u32_e64 v111, s0, v52, v111, s0
	v_sub_co_ci_u32_e64 v113, s1, v34, v113, s1
	v_cmp_gt_u32_e64 s0, s3, v76
	v_cmp_gt_u32_e64 s1, s3, v68
	s_delay_alu instid0(VALU_DEP_2) | instskip(SKIP_2) | instid1(VALU_DEP_4)
	v_cndmask_b32_e64 v115, 0, v36, s0
	v_cndmask_b32_e64 v116, 0, v35, s0
	v_cmp_gt_u32_e64 s0, s3, v99
	v_cndmask_b32_e64 v65, 0, v65, s1
	v_cndmask_b32_e64 v66, 0, v66, s1
	s_delay_alu instid0(VALU_DEP_4) | instskip(NEXT) | instid1(VALU_DEP_4)
	v_sub_co_u32 v116, s1, v37, v116
	v_cndmask_b32_e64 v117, 0, v64, s0
	v_cndmask_b32_e64 v118, 0, v63, s0
	v_sub_co_u32 v65, s0, v63, v65
	s_delay_alu instid0(VALU_DEP_1) | instskip(SKIP_2) | instid1(VALU_DEP_4)
	v_sub_co_ci_u32_e64 v66, s0, v64, v66, s0
	v_cmp_gt_u32_e64 s0, s3, v98
	v_sub_co_ci_u32_e64 v115, s1, v38, v115, s1
	v_add_co_u32 v63, s1, v65, v63
	s_delay_alu instid0(VALU_DEP_3) | instskip(SKIP_3) | instid1(VALU_DEP_1)
	v_cndmask_b32_e64 v65, 0, v62, s0
	v_add_co_ci_u32_e64 v64, s1, v66, v64, s1
	v_cndmask_b32_e64 v66, 0, v61, s0
	v_sub_co_u32 v118, s0, v61, v118
	v_sub_co_ci_u32_e64 v117, s0, v62, v117, s0
	v_cmp_gt_u32_e64 s0, s3, v97
	s_delay_alu instid0(VALU_DEP_3) | instskip(NEXT) | instid1(VALU_DEP_1)
	v_add_co_u32 v61, s1, v118, v61
	v_add_co_ci_u32_e64 v62, s1, v117, v62, s1
	s_delay_alu instid0(VALU_DEP_3) | instskip(SKIP_2) | instid1(VALU_DEP_1)
	v_cndmask_b32_e64 v118, 0, v2, s0
	v_cndmask_b32_e64 v117, 0, v1, s0
	v_sub_co_u32 v66, s0, v1, v66
	v_sub_co_ci_u32_e64 v65, s0, v2, v65, s0
	v_cmp_gt_u32_e64 s0, s3, v96
	s_delay_alu instid0(VALU_DEP_3) | instskip(NEXT) | instid1(VALU_DEP_1)
	v_add_co_u32 v1, s1, v66, v1
	v_add_co_ci_u32_e64 v2, s1, v65, v2, s1
	s_delay_alu instid0(VALU_DEP_3) | instskip(SKIP_2) | instid1(VALU_DEP_1)
	v_cndmask_b32_e64 v66, 0, v32, s0
	;; [unrolled: 9-line block ×21, first 2 shown]
	v_cndmask_b32_e64 v118, 0, v40, s0
	v_sub_co_u32 v66, s0, v39, v66
	v_sub_co_ci_u32_e64 v65, s0, v40, v65, s0
	s_delay_alu instid0(VALU_DEP_4) | instskip(NEXT) | instid1(VALU_DEP_1)
	v_sub_co_u32 v117, s0, v35, v117
	v_sub_co_ci_u32_e64 v118, s0, v36, v118, s0
	s_delay_alu instid0(VALU_DEP_4) | instskip(NEXT) | instid1(VALU_DEP_1)
	v_add_co_u32 v39, s0, v66, v39
	v_add_co_ci_u32_e64 v40, s0, v65, v40, s0
	s_delay_alu instid0(VALU_DEP_4) | instskip(NEXT) | instid1(VALU_DEP_1)
	v_add_co_u32 v35, s0, v117, v35
	v_add_co_ci_u32_e64 v36, s0, v118, v36, s0
	v_add_co_u32 v37, s0, v116, v37
	s_delay_alu instid0(VALU_DEP_1) | instskip(SKIP_1) | instid1(VALU_DEP_1)
	v_add_co_ci_u32_e64 v38, s0, v115, v38, s0
	v_add_co_u32 v33, s0, v114, v33
	v_add_co_ci_u32_e64 v34, s0, v113, v34, s0
	v_add_co_u32 v51, s0, v112, v51
	s_delay_alu instid0(VALU_DEP_1) | instskip(SKIP_1) | instid1(VALU_DEP_1)
	v_add_co_ci_u32_e64 v52, s0, v111, v52, s0
	;; [unrolled: 5-line block ×3, first 2 shown]
	v_add_co_u32 v47, s0, v106, v47
	v_add_co_ci_u32_e64 v48, s0, v105, v48, s0
	v_add_co_u32 v43, s0, v104, v43
	s_delay_alu instid0(VALU_DEP_1)
	v_add_co_ci_u32_e64 v44, s0, v103, v44, s0
	v_add_co_u32 v41, s0, v102, v41
	s_add_i32 s1, s4, s3
	v_add_co_ci_u32_e64 v42, s0, v101, v42, s0
	s_and_b32 s3, s1, 0x1fff
	s_cmp_lg_u32 s5, 0
	s_cbranch_scc0 .LBB173_4
.LBB173_2:                              ; =>This Inner Loop Header: Depth=1
	v_mov_b32_e32 v65, 0x7b
	v_mov_b32_e32 v66, 0
	s_waitcnt vmcnt(2)
	ds_store_b64 v67, v[41:42]
	s_waitcnt vmcnt(0) lgkmcnt(0)
	s_barrier
	buffer_gl0_inv
	s_and_saveexec_b32 s0, vcc_lo
	s_cbranch_execz .LBB173_1
; %bb.3:                                ;   in Loop: Header=BB173_2 Depth=1
	ds_load_b64 v[65:66], v100
	s_branch .LBB173_1
.LBB173_4:
	v_lshlrev_b32_e32 v0, 3, v0
	s_add_u32 s0, s10, s8
	s_addc_u32 s1, s11, s9
	s_delay_alu instid0(VALU_DEP_1) | instskip(NEXT) | instid1(VALU_DEP_1)
	v_add_co_u32 v71, s2, s0, v0
	v_add_co_ci_u32_e64 v72, null, s1, 0, s2
	s_delay_alu instid0(VALU_DEP_2) | instskip(NEXT) | instid1(VALU_DEP_2)
	v_add_co_u32 v65, vcc_lo, 0x1000, v71
	v_add_co_ci_u32_e32 v66, vcc_lo, 0, v72, vcc_lo
	v_add_co_u32 v67, vcc_lo, v71, 0x2000
	v_add_co_ci_u32_e32 v68, vcc_lo, 0, v72, vcc_lo
	;; [unrolled: 2-line block ×3, first 2 shown]
	s_clause 0x4
	global_store_b64 v[67:68], v[21:22], off
	global_store_b64 v0, v[63:64], s[0:1]
	global_store_b64 v0, v[61:62], s[0:1] offset:2048
	global_store_b64 v[65:66], v[31:32], off offset:2048
	global_store_b64 v[69:70], v[29:30], off offset:2048
	v_add_co_u32 v21, vcc_lo, 0x3000, v71
	v_add_co_ci_u32_e32 v22, vcc_lo, 0, v72, vcc_lo
	v_add_co_u32 v29, vcc_lo, v71, 0x4000
	v_add_co_ci_u32_e32 v30, vcc_lo, 0, v72, vcc_lo
	;; [unrolled: 2-line block ×6, first 2 shown]
	s_clause 0x7
	global_store_b64 v[29:30], v[13:14], off offset:-4096
	global_store_b64 v[29:30], v[17:18], off
	global_store_b64 v[63:64], v[27:28], off offset:-4096
	global_store_b64 v[63:64], v[19:20], off
	global_store_b64 v[21:22], v[11:12], off offset:2048
	global_store_b64 v[31:32], v[9:10], off offset:2048
	;; [unrolled: 1-line block ×4, first 2 shown]
	v_add_co_u32 v9, vcc_lo, 0x7000, v71
	v_add_co_ci_u32_e32 v10, vcc_lo, 0, v72, vcc_lo
	v_add_co_u32 v11, vcc_lo, v71, 0x8000
	v_add_co_ci_u32_e32 v12, vcc_lo, 0, v72, vcc_lo
	;; [unrolled: 2-line block ×6, first 2 shown]
	s_clause 0x7
	global_store_b64 v[11:12], v[7:8], off offset:-4096
	global_store_b64 v[11:12], v[15:16], off
	global_store_b64 v[19:20], v[59:60], off offset:-4096
	global_store_b64 v[19:20], v[53:54], off
	global_store_b64 v[9:10], v[5:6], off offset:2048
	global_store_b64 v[13:14], v[3:4], off offset:2048
	;; [unrolled: 1-line block ×4, first 2 shown]
	v_add_co_u32 v3, vcc_lo, 0xb000, v71
	v_add_co_ci_u32_e32 v4, vcc_lo, 0, v72, vcc_lo
	v_add_co_u32 v5, vcc_lo, v71, 0xc000
	v_add_co_ci_u32_e32 v6, vcc_lo, 0, v72, vcc_lo
	;; [unrolled: 2-line block ×6, first 2 shown]
	s_clause 0x3
	global_store_b64 v[5:6], v[39:40], off offset:-4096
	global_store_b64 v[5:6], v[37:38], off
	global_store_b64 v[11:12], v[51:52], off offset:-4096
	global_store_b64 v[11:12], v[45:46], off
	v_add_co_u32 v5, vcc_lo, 0xf000, v71
	v_add_co_ci_u32_e32 v6, vcc_lo, 0, v72, vcc_lo
	s_clause 0x6
	global_store_b64 v[3:4], v[35:36], off offset:2048
	global_store_b64 v[7:8], v[33:34], off offset:2048
	;; [unrolled: 1-line block ×4, first 2 shown]
	global_store_b64 v[5:6], v[43:44], off
	global_store_b64 v[67:68], v[1:2], off offset:-4096
	global_store_b64 v[5:6], v[41:42], off offset:2048
	s_nop 0
	s_sendmsg sendmsg(MSG_DEALLOC_VGPRS)
	s_endpgm
	.section	.rodata,"a",@progbits
	.p2align	6, 0x0
	.amdhsa_kernel _Z6kernelI26subtract_left_partial_tileLj256ELj32ELb1EJPxPiS1_jEEvDpT3_
		.amdhsa_group_segment_fixed_size 4096
		.amdhsa_private_segment_fixed_size 0
		.amdhsa_kernarg_size 28
		.amdhsa_user_sgpr_count 15
		.amdhsa_user_sgpr_dispatch_ptr 0
		.amdhsa_user_sgpr_queue_ptr 0
		.amdhsa_user_sgpr_kernarg_segment_ptr 1
		.amdhsa_user_sgpr_dispatch_id 0
		.amdhsa_user_sgpr_private_segment_size 0
		.amdhsa_wavefront_size32 1
		.amdhsa_uses_dynamic_stack 0
		.amdhsa_enable_private_segment 0
		.amdhsa_system_sgpr_workgroup_id_x 1
		.amdhsa_system_sgpr_workgroup_id_y 0
		.amdhsa_system_sgpr_workgroup_id_z 0
		.amdhsa_system_sgpr_workgroup_info 0
		.amdhsa_system_vgpr_workitem_id 0
		.amdhsa_next_free_vgpr 119
		.amdhsa_next_free_sgpr 16
		.amdhsa_reserve_vcc 1
		.amdhsa_float_round_mode_32 0
		.amdhsa_float_round_mode_16_64 0
		.amdhsa_float_denorm_mode_32 3
		.amdhsa_float_denorm_mode_16_64 3
		.amdhsa_dx10_clamp 1
		.amdhsa_ieee_mode 1
		.amdhsa_fp16_overflow 0
		.amdhsa_workgroup_processor_mode 1
		.amdhsa_memory_ordered 1
		.amdhsa_forward_progress 0
		.amdhsa_shared_vgpr_count 0
		.amdhsa_exception_fp_ieee_invalid_op 0
		.amdhsa_exception_fp_denorm_src 0
		.amdhsa_exception_fp_ieee_div_zero 0
		.amdhsa_exception_fp_ieee_overflow 0
		.amdhsa_exception_fp_ieee_underflow 0
		.amdhsa_exception_fp_ieee_inexact 0
		.amdhsa_exception_int_div_zero 0
	.end_amdhsa_kernel
	.section	.text._Z6kernelI26subtract_left_partial_tileLj256ELj32ELb1EJPxPiS1_jEEvDpT3_,"axG",@progbits,_Z6kernelI26subtract_left_partial_tileLj256ELj32ELb1EJPxPiS1_jEEvDpT3_,comdat
.Lfunc_end173:
	.size	_Z6kernelI26subtract_left_partial_tileLj256ELj32ELb1EJPxPiS1_jEEvDpT3_, .Lfunc_end173-_Z6kernelI26subtract_left_partial_tileLj256ELj32ELb1EJPxPiS1_jEEvDpT3_
                                        ; -- End function
	.section	.AMDGPU.csdata,"",@progbits
; Kernel info:
; codeLenInByte = 3792
; NumSgprs: 18
; NumVgprs: 119
; ScratchSize: 0
; MemoryBound: 0
; FloatMode: 240
; IeeeMode: 1
; LDSByteSize: 4096 bytes/workgroup (compile time only)
; SGPRBlocks: 2
; VGPRBlocks: 14
; NumSGPRsForWavesPerEU: 18
; NumVGPRsForWavesPerEU: 119
; Occupancy: 12
; WaveLimiterHint : 1
; COMPUTE_PGM_RSRC2:SCRATCH_EN: 0
; COMPUTE_PGM_RSRC2:USER_SGPR: 15
; COMPUTE_PGM_RSRC2:TRAP_HANDLER: 0
; COMPUTE_PGM_RSRC2:TGID_X_EN: 1
; COMPUTE_PGM_RSRC2:TGID_Y_EN: 0
; COMPUTE_PGM_RSRC2:TGID_Z_EN: 0
; COMPUTE_PGM_RSRC2:TIDIG_COMP_CNT: 0
	.section	.text._Z6kernelI26subtract_left_partial_tileLj256ELj1ELb1EJPdPiS1_jEEvDpT3_,"axG",@progbits,_Z6kernelI26subtract_left_partial_tileLj256ELj1ELb1EJPdPiS1_jEEvDpT3_,comdat
	.protected	_Z6kernelI26subtract_left_partial_tileLj256ELj1ELb1EJPdPiS1_jEEvDpT3_ ; -- Begin function _Z6kernelI26subtract_left_partial_tileLj256ELj1ELb1EJPdPiS1_jEEvDpT3_
	.globl	_Z6kernelI26subtract_left_partial_tileLj256ELj1ELb1EJPdPiS1_jEEvDpT3_
	.p2align	8
	.type	_Z6kernelI26subtract_left_partial_tileLj256ELj1ELb1EJPdPiS1_jEEvDpT3_,@function
_Z6kernelI26subtract_left_partial_tileLj256ELj1ELb1EJPdPiS1_jEEvDpT3_: ; @_Z6kernelI26subtract_left_partial_tileLj256ELj1ELb1EJPdPiS1_jEEvDpT3_
; %bb.0:
	s_clause 0x1
	s_load_b128 s[8:11], s[0:1], 0x0
	s_load_b64 s[4:5], s[0:1], 0x10
	s_lshl_b32 s12, s15, 8
	s_mov_b32 s13, 0
	v_lshlrev_b32_e32 v5, 3, v0
	s_lshl_b64 s[2:3], s[12:13], 3
	s_mov_b32 s6, s15
	s_mov_b32 s7, s13
	v_cmp_ne_u32_e32 vcc_lo, 0, v0
	v_add_nc_u32_e32 v6, -8, v5
	s_waitcnt lgkmcnt(0)
	s_add_u32 s8, s8, s2
	s_addc_u32 s9, s9, s3
	global_load_b64 v[1:2], v5, s[8:9]
	s_load_b32 s8, s[0:1], 0x18
	s_lshl_b64 s[0:1], s[6:7], 2
	s_delay_alu instid0(SALU_CYCLE_1)
	s_add_u32 s0, s10, s0
	s_addc_u32 s1, s11, s1
	s_load_b32 s1, s[0:1], 0x0
	s_waitcnt lgkmcnt(0)
	v_cvt_f32_u32_e32 v3, s8
	s_sub_i32 s7, 0, s8
	s_delay_alu instid0(VALU_DEP_1) | instskip(SKIP_2) | instid1(VALU_DEP_1)
	v_rcp_iflag_f32_e32 v3, v3
	s_waitcnt_depctr 0xfff
	v_mul_f32_e32 v3, 0x4f7ffffe, v3
	v_cvt_u32_f32_e32 v3, v3
	s_delay_alu instid0(VALU_DEP_1) | instskip(NEXT) | instid1(VALU_DEP_1)
	v_readfirstlane_b32 s6, v3
	s_mul_i32 s7, s7, s6
	s_delay_alu instid0(SALU_CYCLE_1) | instskip(NEXT) | instid1(SALU_CYCLE_1)
	s_mul_hi_u32 s7, s6, s7
	s_add_i32 s6, s6, s7
	s_delay_alu instid0(SALU_CYCLE_1) | instskip(NEXT) | instid1(SALU_CYCLE_1)
	s_lshr_b32 s6, s6, 24
	s_mul_i32 s0, s6, s8
	s_add_i32 s7, s6, 1
	s_sub_i32 s0, 0x100, s0
	s_delay_alu instid0(SALU_CYCLE_1)
	s_sub_i32 s9, s0, s8
	s_cmp_ge_u32 s0, s8
	s_cselect_b32 s6, s7, s6
	s_cselect_b32 s0, s9, s0
	s_add_i32 s7, s6, 1
	s_cmp_ge_u32 s0, s8
	s_cselect_b32 s6, s7, s6
	s_max_u32 s7, s8, 1
	s_add_i32 s6, s6, 1
	s_set_inst_prefetch_distance 0x1
	s_branch .LBB174_2
	.p2align	6
.LBB174_1:                              ;   in Loop: Header=BB174_2 Depth=1
	s_or_b32 exec_lo, exec_lo, s0
	s_waitcnt lgkmcnt(0)
	v_add_f64 v[3:4], v[1:2], -v[3:4]
	v_cmp_gt_u32_e64 s0, s1, v0
	s_add_i32 s7, s7, -1
	s_barrier
	buffer_gl0_inv
	v_cndmask_b32_e64 v4, v2, v4, s0
	v_cndmask_b32_e64 v3, v1, v3, s0
	s_add_i32 s0, s6, s1
	s_delay_alu instid0(SALU_CYCLE_1) | instskip(SKIP_1) | instid1(VALU_DEP_1)
	s_and_b32 s1, s0, 0xff
	s_cmp_lg_u32 s7, 0
	v_add_f64 v[1:2], v[1:2], v[3:4]
	s_cbranch_scc0 .LBB174_4
.LBB174_2:                              ; =>This Inner Loop Header: Depth=1
	v_mov_b32_e32 v3, 0
	v_mov_b32_e32 v4, 0x405ec000
	s_waitcnt vmcnt(0)
	ds_store_b64 v5, v[1:2]
	s_waitcnt lgkmcnt(0)
	s_barrier
	buffer_gl0_inv
	s_and_saveexec_b32 s0, vcc_lo
	s_cbranch_execz .LBB174_1
; %bb.3:                                ;   in Loop: Header=BB174_2 Depth=1
	ds_load_b64 v[3:4], v6
	s_branch .LBB174_1
.LBB174_4:
	s_set_inst_prefetch_distance 0x2
	v_lshlrev_b32_e32 v0, 3, v0
	s_add_u32 s0, s4, s2
	s_addc_u32 s1, s5, s3
	global_store_b64 v0, v[1:2], s[0:1]
	s_nop 0
	s_sendmsg sendmsg(MSG_DEALLOC_VGPRS)
	s_endpgm
	.section	.rodata,"a",@progbits
	.p2align	6, 0x0
	.amdhsa_kernel _Z6kernelI26subtract_left_partial_tileLj256ELj1ELb1EJPdPiS1_jEEvDpT3_
		.amdhsa_group_segment_fixed_size 4096
		.amdhsa_private_segment_fixed_size 0
		.amdhsa_kernarg_size 28
		.amdhsa_user_sgpr_count 15
		.amdhsa_user_sgpr_dispatch_ptr 0
		.amdhsa_user_sgpr_queue_ptr 0
		.amdhsa_user_sgpr_kernarg_segment_ptr 1
		.amdhsa_user_sgpr_dispatch_id 0
		.amdhsa_user_sgpr_private_segment_size 0
		.amdhsa_wavefront_size32 1
		.amdhsa_uses_dynamic_stack 0
		.amdhsa_enable_private_segment 0
		.amdhsa_system_sgpr_workgroup_id_x 1
		.amdhsa_system_sgpr_workgroup_id_y 0
		.amdhsa_system_sgpr_workgroup_id_z 0
		.amdhsa_system_sgpr_workgroup_info 0
		.amdhsa_system_vgpr_workitem_id 0
		.amdhsa_next_free_vgpr 7
		.amdhsa_next_free_sgpr 16
		.amdhsa_reserve_vcc 1
		.amdhsa_float_round_mode_32 0
		.amdhsa_float_round_mode_16_64 0
		.amdhsa_float_denorm_mode_32 3
		.amdhsa_float_denorm_mode_16_64 3
		.amdhsa_dx10_clamp 1
		.amdhsa_ieee_mode 1
		.amdhsa_fp16_overflow 0
		.amdhsa_workgroup_processor_mode 1
		.amdhsa_memory_ordered 1
		.amdhsa_forward_progress 0
		.amdhsa_shared_vgpr_count 0
		.amdhsa_exception_fp_ieee_invalid_op 0
		.amdhsa_exception_fp_denorm_src 0
		.amdhsa_exception_fp_ieee_div_zero 0
		.amdhsa_exception_fp_ieee_overflow 0
		.amdhsa_exception_fp_ieee_underflow 0
		.amdhsa_exception_fp_ieee_inexact 0
		.amdhsa_exception_int_div_zero 0
	.end_amdhsa_kernel
	.section	.text._Z6kernelI26subtract_left_partial_tileLj256ELj1ELb1EJPdPiS1_jEEvDpT3_,"axG",@progbits,_Z6kernelI26subtract_left_partial_tileLj256ELj1ELb1EJPdPiS1_jEEvDpT3_,comdat
.Lfunc_end174:
	.size	_Z6kernelI26subtract_left_partial_tileLj256ELj1ELb1EJPdPiS1_jEEvDpT3_, .Lfunc_end174-_Z6kernelI26subtract_left_partial_tileLj256ELj1ELb1EJPdPiS1_jEEvDpT3_
                                        ; -- End function
	.section	.AMDGPU.csdata,"",@progbits
; Kernel info:
; codeLenInByte = 420
; NumSgprs: 18
; NumVgprs: 7
; ScratchSize: 0
; MemoryBound: 0
; FloatMode: 240
; IeeeMode: 1
; LDSByteSize: 4096 bytes/workgroup (compile time only)
; SGPRBlocks: 2
; VGPRBlocks: 0
; NumSGPRsForWavesPerEU: 18
; NumVGPRsForWavesPerEU: 7
; Occupancy: 16
; WaveLimiterHint : 0
; COMPUTE_PGM_RSRC2:SCRATCH_EN: 0
; COMPUTE_PGM_RSRC2:USER_SGPR: 15
; COMPUTE_PGM_RSRC2:TRAP_HANDLER: 0
; COMPUTE_PGM_RSRC2:TGID_X_EN: 1
; COMPUTE_PGM_RSRC2:TGID_Y_EN: 0
; COMPUTE_PGM_RSRC2:TGID_Z_EN: 0
; COMPUTE_PGM_RSRC2:TIDIG_COMP_CNT: 0
	.section	.text._Z6kernelI26subtract_left_partial_tileLj256ELj3ELb1EJPdPiS1_jEEvDpT3_,"axG",@progbits,_Z6kernelI26subtract_left_partial_tileLj256ELj3ELb1EJPdPiS1_jEEvDpT3_,comdat
	.protected	_Z6kernelI26subtract_left_partial_tileLj256ELj3ELb1EJPdPiS1_jEEvDpT3_ ; -- Begin function _Z6kernelI26subtract_left_partial_tileLj256ELj3ELb1EJPdPiS1_jEEvDpT3_
	.globl	_Z6kernelI26subtract_left_partial_tileLj256ELj3ELb1EJPdPiS1_jEEvDpT3_
	.p2align	8
	.type	_Z6kernelI26subtract_left_partial_tileLj256ELj3ELb1EJPdPiS1_jEEvDpT3_,@function
_Z6kernelI26subtract_left_partial_tileLj256ELj3ELb1EJPdPiS1_jEEvDpT3_: ; @_Z6kernelI26subtract_left_partial_tileLj256ELj3ELb1EJPdPiS1_jEEvDpT3_
; %bb.0:
	s_clause 0x1
	s_load_b128 s[4:7], s[0:1], 0x0
	s_load_b64 s[10:11], s[0:1], 0x10
	s_mov_b32 s13, 0
	s_mul_i32 s12, s15, 0x300
	v_lshlrev_b32_e32 v9, 3, v0
	s_lshl_b64 s[8:9], s[12:13], 3
	s_mov_b32 s2, s15
	v_mul_u32_u24_e32 v10, 3, v0
	v_mad_u32_u24 v11, v0, 3, 2
	v_mad_u32_u24 v12, v0, 3, 1
	v_add_nc_u32_e32 v13, -8, v9
	s_waitcnt lgkmcnt(0)
	s_add_u32 s4, s4, s8
	s_addc_u32 s5, s5, s9
	v_add_co_u32 v1, s3, s4, v9
	s_delay_alu instid0(VALU_DEP_1) | instskip(SKIP_1) | instid1(VALU_DEP_2)
	v_add_co_ci_u32_e64 v2, null, s5, 0, s3
	s_mov_b32 s3, s13
	v_add_co_u32 v5, vcc_lo, 0x1000, v1
	s_delay_alu instid0(VALU_DEP_2)
	v_add_co_ci_u32_e32 v6, vcc_lo, 0, v2, vcc_lo
	v_cmp_ne_u32_e32 vcc_lo, 0, v0
	s_clause 0x2
	global_load_b64 v[1:2], v9, s[4:5]
	global_load_b64 v[3:4], v9, s[4:5] offset:2048
	global_load_b64 v[5:6], v[5:6], off
	s_load_b32 s5, s[0:1], 0x18
	s_lshl_b64 s[0:1], s[2:3], 2
	s_delay_alu instid0(SALU_CYCLE_1) | instskip(SKIP_4) | instid1(VALU_DEP_1)
	s_add_u32 s0, s6, s0
	s_addc_u32 s1, s7, s1
	s_waitcnt lgkmcnt(0)
	v_cvt_f32_u32_e32 v7, s5
	s_sub_i32 s3, 0, s5
	v_rcp_iflag_f32_e32 v7, v7
	s_waitcnt_depctr 0xfff
	v_mul_f32_e32 v7, 0x4f7ffffe, v7
	s_delay_alu instid0(VALU_DEP_1) | instskip(NEXT) | instid1(VALU_DEP_1)
	v_cvt_u32_f32_e32 v7, v7
	v_readfirstlane_b32 s2, v7
	s_delay_alu instid0(VALU_DEP_1) | instskip(NEXT) | instid1(SALU_CYCLE_1)
	s_mul_i32 s3, s3, s2
	s_mul_hi_u32 s3, s2, s3
	s_delay_alu instid0(SALU_CYCLE_1) | instskip(SKIP_2) | instid1(SALU_CYCLE_1)
	s_add_i32 s2, s2, s3
	s_load_b32 s3, s[0:1], 0x0
	s_mul_hi_u32 s2, s2, 0x300
	s_mul_i32 s4, s2, s5
	s_add_i32 s1, s2, 1
	s_sub_i32 s0, 0x300, s4
	s_delay_alu instid0(SALU_CYCLE_1)
	s_sub_i32 s4, s0, s5
	s_cmp_ge_u32 s0, s5
	s_cselect_b32 s1, s1, s2
	s_cselect_b32 s0, s4, s0
	s_add_i32 s2, s1, 1
	s_cmp_ge_u32 s0, s5
	s_cselect_b32 s4, s2, s1
	s_max_u32 s5, s5, 1
	s_add_i32 s4, s4, 1
	s_branch .LBB175_2
.LBB175_1:                              ;   in Loop: Header=BB175_2 Depth=1
	s_or_b32 exec_lo, exec_lo, s0
	v_add_f64 v[14:15], v[5:6], -v[3:4]
	v_add_f64 v[16:17], v[3:4], -v[1:2]
	s_waitcnt lgkmcnt(0)
	v_add_f64 v[7:8], v[1:2], -v[7:8]
	v_cmp_gt_u32_e64 s0, s3, v12
	v_cmp_gt_u32_e64 s1, s3, v10
	;; [unrolled: 1-line block ×3, first 2 shown]
	s_add_i32 s5, s5, -1
	s_barrier
	buffer_gl0_inv
	v_cndmask_b32_e64 v15, v6, v15, s2
	v_cndmask_b32_e64 v17, v4, v17, s0
	;; [unrolled: 1-line block ×6, first 2 shown]
	s_add_i32 s0, s4, s3
	s_delay_alu instid0(VALU_DEP_3) | instskip(NEXT) | instid1(VALU_DEP_3)
	v_add_f64 v[1:2], v[1:2], v[7:8]
	v_add_f64 v[3:4], v[3:4], v[16:17]
	s_delay_alu instid0(VALU_DEP_3) | instskip(SKIP_1) | instid1(SALU_CYCLE_1)
	v_add_f64 v[5:6], v[5:6], v[14:15]
	s_mul_hi_u32 s1, s0, 0xaaaaaaab
	s_lshr_b32 s1, s1, 9
	s_delay_alu instid0(SALU_CYCLE_1) | instskip(NEXT) | instid1(SALU_CYCLE_1)
	s_mulk_i32 s1, 0x300
	s_sub_i32 s3, s0, s1
	s_cmp_lg_u32 s5, 0
	s_cbranch_scc0 .LBB175_4
.LBB175_2:                              ; =>This Inner Loop Header: Depth=1
	v_mov_b32_e32 v7, 0
	v_mov_b32_e32 v8, 0x405ec000
	s_waitcnt vmcnt(0)
	ds_store_b64 v9, v[5:6]
	s_waitcnt lgkmcnt(0)
	s_barrier
	buffer_gl0_inv
	s_and_saveexec_b32 s0, vcc_lo
	s_cbranch_execz .LBB175_1
; %bb.3:                                ;   in Loop: Header=BB175_2 Depth=1
	ds_load_b64 v[7:8], v13
	s_branch .LBB175_1
.LBB175_4:
	v_lshlrev_b32_e32 v0, 3, v0
	s_add_u32 s0, s10, s8
	s_addc_u32 s1, s11, s9
	s_delay_alu instid0(VALU_DEP_1) | instskip(NEXT) | instid1(VALU_DEP_1)
	v_add_co_u32 v7, s2, s0, v0
	v_add_co_ci_u32_e64 v8, null, s1, 0, s2
	s_delay_alu instid0(VALU_DEP_2) | instskip(NEXT) | instid1(VALU_DEP_2)
	v_add_co_u32 v7, vcc_lo, 0x1000, v7
	v_add_co_ci_u32_e32 v8, vcc_lo, 0, v8, vcc_lo
	s_clause 0x2
	global_store_b64 v0, v[1:2], s[0:1]
	global_store_b64 v0, v[3:4], s[0:1] offset:2048
	global_store_b64 v[7:8], v[5:6], off
	s_nop 0
	s_sendmsg sendmsg(MSG_DEALLOC_VGPRS)
	s_endpgm
	.section	.rodata,"a",@progbits
	.p2align	6, 0x0
	.amdhsa_kernel _Z6kernelI26subtract_left_partial_tileLj256ELj3ELb1EJPdPiS1_jEEvDpT3_
		.amdhsa_group_segment_fixed_size 4096
		.amdhsa_private_segment_fixed_size 0
		.amdhsa_kernarg_size 28
		.amdhsa_user_sgpr_count 15
		.amdhsa_user_sgpr_dispatch_ptr 0
		.amdhsa_user_sgpr_queue_ptr 0
		.amdhsa_user_sgpr_kernarg_segment_ptr 1
		.amdhsa_user_sgpr_dispatch_id 0
		.amdhsa_user_sgpr_private_segment_size 0
		.amdhsa_wavefront_size32 1
		.amdhsa_uses_dynamic_stack 0
		.amdhsa_enable_private_segment 0
		.amdhsa_system_sgpr_workgroup_id_x 1
		.amdhsa_system_sgpr_workgroup_id_y 0
		.amdhsa_system_sgpr_workgroup_id_z 0
		.amdhsa_system_sgpr_workgroup_info 0
		.amdhsa_system_vgpr_workitem_id 0
		.amdhsa_next_free_vgpr 18
		.amdhsa_next_free_sgpr 16
		.amdhsa_reserve_vcc 1
		.amdhsa_float_round_mode_32 0
		.amdhsa_float_round_mode_16_64 0
		.amdhsa_float_denorm_mode_32 3
		.amdhsa_float_denorm_mode_16_64 3
		.amdhsa_dx10_clamp 1
		.amdhsa_ieee_mode 1
		.amdhsa_fp16_overflow 0
		.amdhsa_workgroup_processor_mode 1
		.amdhsa_memory_ordered 1
		.amdhsa_forward_progress 0
		.amdhsa_shared_vgpr_count 0
		.amdhsa_exception_fp_ieee_invalid_op 0
		.amdhsa_exception_fp_denorm_src 0
		.amdhsa_exception_fp_ieee_div_zero 0
		.amdhsa_exception_fp_ieee_overflow 0
		.amdhsa_exception_fp_ieee_underflow 0
		.amdhsa_exception_fp_ieee_inexact 0
		.amdhsa_exception_int_div_zero 0
	.end_amdhsa_kernel
	.section	.text._Z6kernelI26subtract_left_partial_tileLj256ELj3ELb1EJPdPiS1_jEEvDpT3_,"axG",@progbits,_Z6kernelI26subtract_left_partial_tileLj256ELj3ELb1EJPdPiS1_jEEvDpT3_,comdat
.Lfunc_end175:
	.size	_Z6kernelI26subtract_left_partial_tileLj256ELj3ELb1EJPdPiS1_jEEvDpT3_, .Lfunc_end175-_Z6kernelI26subtract_left_partial_tileLj256ELj3ELb1EJPdPiS1_jEEvDpT3_
                                        ; -- End function
	.section	.AMDGPU.csdata,"",@progbits
; Kernel info:
; codeLenInByte = 656
; NumSgprs: 18
; NumVgprs: 18
; ScratchSize: 0
; MemoryBound: 0
; FloatMode: 240
; IeeeMode: 1
; LDSByteSize: 4096 bytes/workgroup (compile time only)
; SGPRBlocks: 2
; VGPRBlocks: 2
; NumSGPRsForWavesPerEU: 18
; NumVGPRsForWavesPerEU: 18
; Occupancy: 16
; WaveLimiterHint : 1
; COMPUTE_PGM_RSRC2:SCRATCH_EN: 0
; COMPUTE_PGM_RSRC2:USER_SGPR: 15
; COMPUTE_PGM_RSRC2:TRAP_HANDLER: 0
; COMPUTE_PGM_RSRC2:TGID_X_EN: 1
; COMPUTE_PGM_RSRC2:TGID_Y_EN: 0
; COMPUTE_PGM_RSRC2:TGID_Z_EN: 0
; COMPUTE_PGM_RSRC2:TIDIG_COMP_CNT: 0
	.section	.text._Z6kernelI26subtract_left_partial_tileLj256ELj4ELb1EJPdPiS1_jEEvDpT3_,"axG",@progbits,_Z6kernelI26subtract_left_partial_tileLj256ELj4ELb1EJPdPiS1_jEEvDpT3_,comdat
	.protected	_Z6kernelI26subtract_left_partial_tileLj256ELj4ELb1EJPdPiS1_jEEvDpT3_ ; -- Begin function _Z6kernelI26subtract_left_partial_tileLj256ELj4ELb1EJPdPiS1_jEEvDpT3_
	.globl	_Z6kernelI26subtract_left_partial_tileLj256ELj4ELb1EJPdPiS1_jEEvDpT3_
	.p2align	8
	.type	_Z6kernelI26subtract_left_partial_tileLj256ELj4ELb1EJPdPiS1_jEEvDpT3_,@function
_Z6kernelI26subtract_left_partial_tileLj256ELj4ELb1EJPdPiS1_jEEvDpT3_: ; @_Z6kernelI26subtract_left_partial_tileLj256ELj4ELb1EJPdPiS1_jEEvDpT3_
; %bb.0:
	s_clause 0x1
	s_load_b128 s[4:7], s[0:1], 0x0
	s_load_b64 s[10:11], s[0:1], 0x10
	s_mov_b32 s13, 0
	s_lshl_b32 s12, s15, 10
	v_lshlrev_b32_e32 v11, 3, v0
	s_lshl_b64 s[8:9], s[12:13], 3
	s_load_b32 s12, s[0:1], 0x18
	s_mov_b32 s2, s15
	v_lshlrev_b32_e32 v12, 2, v0
	v_add_nc_u32_e32 v16, -8, v11
	s_delay_alu instid0(VALU_DEP_2)
	v_or_b32_e32 v13, 3, v12
	v_or_b32_e32 v14, 2, v12
	;; [unrolled: 1-line block ×3, first 2 shown]
	s_waitcnt lgkmcnt(0)
	s_add_u32 s4, s4, s8
	s_addc_u32 s5, s5, s9
	v_add_co_u32 v1, s3, s4, v11
	s_delay_alu instid0(VALU_DEP_1) | instskip(SKIP_1) | instid1(VALU_DEP_3)
	v_add_co_ci_u32_e64 v2, null, s5, 0, s3
	v_cvt_f32_u32_e32 v9, s12
	v_add_co_u32 v7, vcc_lo, 0x1000, v1
	s_delay_alu instid0(VALU_DEP_3)
	v_add_co_ci_u32_e32 v8, vcc_lo, 0, v2, vcc_lo
	s_clause 0x3
	global_load_b64 v[1:2], v11, s[4:5]
	global_load_b64 v[3:4], v11, s[4:5] offset:2048
	global_load_b64 v[5:6], v[7:8], off
	global_load_b64 v[7:8], v[7:8], off offset:2048
	v_rcp_iflag_f32_e32 v9, v9
	s_mov_b32 s3, s13
	v_cmp_ne_u32_e32 vcc_lo, 0, v0
	s_lshl_b64 s[0:1], s[2:3], 2
	s_delay_alu instid0(SALU_CYCLE_1)
	s_add_u32 s0, s6, s0
	s_addc_u32 s1, s7, s1
	s_sub_i32 s3, 0, s12
	s_load_b32 s4, s[0:1], 0x0
	s_waitcnt_depctr 0xfff
	v_mul_f32_e32 v9, 0x4f7ffffe, v9
	s_delay_alu instid0(VALU_DEP_1) | instskip(NEXT) | instid1(VALU_DEP_1)
	v_cvt_u32_f32_e32 v9, v9
	v_readfirstlane_b32 s2, v9
	s_delay_alu instid0(VALU_DEP_1) | instskip(NEXT) | instid1(SALU_CYCLE_1)
	s_mul_i32 s3, s3, s2
	s_mul_hi_u32 s3, s2, s3
	s_delay_alu instid0(SALU_CYCLE_1) | instskip(NEXT) | instid1(SALU_CYCLE_1)
	s_add_i32 s2, s2, s3
	s_lshr_b32 s2, s2, 22
	s_delay_alu instid0(SALU_CYCLE_1) | instskip(SKIP_2) | instid1(SALU_CYCLE_1)
	s_mul_i32 s3, s2, s12
	s_add_i32 s1, s2, 1
	s_sub_i32 s0, 0x400, s3
	s_sub_i32 s3, s0, s12
	s_cmp_ge_u32 s0, s12
	s_cselect_b32 s1, s1, s2
	s_cselect_b32 s0, s3, s0
	s_add_i32 s2, s1, 1
	s_cmp_ge_u32 s0, s12
	s_cselect_b32 s5, s2, s1
	s_max_u32 s6, s12, 1
	s_add_i32 s5, s5, 1
	s_branch .LBB176_2
.LBB176_1:                              ;   in Loop: Header=BB176_2 Depth=1
	s_or_b32 exec_lo, exec_lo, s0
	v_add_f64 v[17:18], v[7:8], -v[5:6]
	v_add_f64 v[19:20], v[5:6], -v[3:4]
	;; [unrolled: 1-line block ×3, first 2 shown]
	s_waitcnt lgkmcnt(0)
	v_add_f64 v[9:10], v[1:2], -v[9:10]
	v_cmp_gt_u32_e64 s0, s4, v15
	v_cmp_gt_u32_e64 s1, s4, v12
	;; [unrolled: 1-line block ×4, first 2 shown]
	s_add_i32 s6, s6, -1
	s_barrier
	buffer_gl0_inv
	v_cndmask_b32_e64 v18, v8, v18, s2
	v_cndmask_b32_e64 v20, v6, v20, s3
	;; [unrolled: 1-line block ×8, first 2 shown]
	s_add_i32 s0, s5, s4
	v_add_f64 v[1:2], v[1:2], v[9:10]
	v_add_f64 v[3:4], v[3:4], v[21:22]
	;; [unrolled: 1-line block ×4, first 2 shown]
	s_and_b32 s4, s0, 0x3ff
	s_cmp_lg_u32 s6, 0
	s_cbranch_scc0 .LBB176_4
.LBB176_2:                              ; =>This Inner Loop Header: Depth=1
	v_mov_b32_e32 v9, 0
	v_mov_b32_e32 v10, 0x405ec000
	s_waitcnt vmcnt(0)
	ds_store_b64 v11, v[7:8]
	s_waitcnt lgkmcnt(0)
	s_barrier
	buffer_gl0_inv
	s_and_saveexec_b32 s0, vcc_lo
	s_cbranch_execz .LBB176_1
; %bb.3:                                ;   in Loop: Header=BB176_2 Depth=1
	ds_load_b64 v[9:10], v16
	s_branch .LBB176_1
.LBB176_4:
	v_lshlrev_b32_e32 v0, 3, v0
	s_add_u32 s0, s10, s8
	s_addc_u32 s1, s11, s9
	s_delay_alu instid0(VALU_DEP_1) | instskip(NEXT) | instid1(VALU_DEP_1)
	v_add_co_u32 v9, s2, s0, v0
	v_add_co_ci_u32_e64 v10, null, s1, 0, s2
	s_delay_alu instid0(VALU_DEP_2) | instskip(NEXT) | instid1(VALU_DEP_2)
	v_add_co_u32 v9, vcc_lo, 0x1000, v9
	v_add_co_ci_u32_e32 v10, vcc_lo, 0, v10, vcc_lo
	s_clause 0x3
	global_store_b64 v0, v[1:2], s[0:1]
	global_store_b64 v0, v[3:4], s[0:1] offset:2048
	global_store_b64 v[9:10], v[5:6], off
	global_store_b64 v[9:10], v[7:8], off offset:2048
	s_nop 0
	s_sendmsg sendmsg(MSG_DEALLOC_VGPRS)
	s_endpgm
	.section	.rodata,"a",@progbits
	.p2align	6, 0x0
	.amdhsa_kernel _Z6kernelI26subtract_left_partial_tileLj256ELj4ELb1EJPdPiS1_jEEvDpT3_
		.amdhsa_group_segment_fixed_size 4096
		.amdhsa_private_segment_fixed_size 0
		.amdhsa_kernarg_size 28
		.amdhsa_user_sgpr_count 15
		.amdhsa_user_sgpr_dispatch_ptr 0
		.amdhsa_user_sgpr_queue_ptr 0
		.amdhsa_user_sgpr_kernarg_segment_ptr 1
		.amdhsa_user_sgpr_dispatch_id 0
		.amdhsa_user_sgpr_private_segment_size 0
		.amdhsa_wavefront_size32 1
		.amdhsa_uses_dynamic_stack 0
		.amdhsa_enable_private_segment 0
		.amdhsa_system_sgpr_workgroup_id_x 1
		.amdhsa_system_sgpr_workgroup_id_y 0
		.amdhsa_system_sgpr_workgroup_id_z 0
		.amdhsa_system_sgpr_workgroup_info 0
		.amdhsa_system_vgpr_workitem_id 0
		.amdhsa_next_free_vgpr 23
		.amdhsa_next_free_sgpr 16
		.amdhsa_reserve_vcc 1
		.amdhsa_float_round_mode_32 0
		.amdhsa_float_round_mode_16_64 0
		.amdhsa_float_denorm_mode_32 3
		.amdhsa_float_denorm_mode_16_64 3
		.amdhsa_dx10_clamp 1
		.amdhsa_ieee_mode 1
		.amdhsa_fp16_overflow 0
		.amdhsa_workgroup_processor_mode 1
		.amdhsa_memory_ordered 1
		.amdhsa_forward_progress 0
		.amdhsa_shared_vgpr_count 0
		.amdhsa_exception_fp_ieee_invalid_op 0
		.amdhsa_exception_fp_denorm_src 0
		.amdhsa_exception_fp_ieee_div_zero 0
		.amdhsa_exception_fp_ieee_overflow 0
		.amdhsa_exception_fp_ieee_underflow 0
		.amdhsa_exception_fp_ieee_inexact 0
		.amdhsa_exception_int_div_zero 0
	.end_amdhsa_kernel
	.section	.text._Z6kernelI26subtract_left_partial_tileLj256ELj4ELb1EJPdPiS1_jEEvDpT3_,"axG",@progbits,_Z6kernelI26subtract_left_partial_tileLj256ELj4ELb1EJPdPiS1_jEEvDpT3_,comdat
.Lfunc_end176:
	.size	_Z6kernelI26subtract_left_partial_tileLj256ELj4ELb1EJPdPiS1_jEEvDpT3_, .Lfunc_end176-_Z6kernelI26subtract_left_partial_tileLj256ELj4ELb1EJPdPiS1_jEEvDpT3_
                                        ; -- End function
	.section	.AMDGPU.csdata,"",@progbits
; Kernel info:
; codeLenInByte = 676
; NumSgprs: 18
; NumVgprs: 23
; ScratchSize: 0
; MemoryBound: 0
; FloatMode: 240
; IeeeMode: 1
; LDSByteSize: 4096 bytes/workgroup (compile time only)
; SGPRBlocks: 2
; VGPRBlocks: 2
; NumSGPRsForWavesPerEU: 18
; NumVGPRsForWavesPerEU: 23
; Occupancy: 16
; WaveLimiterHint : 1
; COMPUTE_PGM_RSRC2:SCRATCH_EN: 0
; COMPUTE_PGM_RSRC2:USER_SGPR: 15
; COMPUTE_PGM_RSRC2:TRAP_HANDLER: 0
; COMPUTE_PGM_RSRC2:TGID_X_EN: 1
; COMPUTE_PGM_RSRC2:TGID_Y_EN: 0
; COMPUTE_PGM_RSRC2:TGID_Z_EN: 0
; COMPUTE_PGM_RSRC2:TIDIG_COMP_CNT: 0
	.section	.text._Z6kernelI26subtract_left_partial_tileLj256ELj8ELb1EJPdPiS1_jEEvDpT3_,"axG",@progbits,_Z6kernelI26subtract_left_partial_tileLj256ELj8ELb1EJPdPiS1_jEEvDpT3_,comdat
	.protected	_Z6kernelI26subtract_left_partial_tileLj256ELj8ELb1EJPdPiS1_jEEvDpT3_ ; -- Begin function _Z6kernelI26subtract_left_partial_tileLj256ELj8ELb1EJPdPiS1_jEEvDpT3_
	.globl	_Z6kernelI26subtract_left_partial_tileLj256ELj8ELb1EJPdPiS1_jEEvDpT3_
	.p2align	8
	.type	_Z6kernelI26subtract_left_partial_tileLj256ELj8ELb1EJPdPiS1_jEEvDpT3_,@function
_Z6kernelI26subtract_left_partial_tileLj256ELj8ELb1EJPdPiS1_jEEvDpT3_: ; @_Z6kernelI26subtract_left_partial_tileLj256ELj8ELb1EJPdPiS1_jEEvDpT3_
; %bb.0:
	s_clause 0x1
	s_load_b128 s[4:7], s[0:1], 0x0
	s_load_b64 s[10:11], s[0:1], 0x10
	s_mov_b32 s13, 0
	s_lshl_b32 s12, s15, 11
	v_lshlrev_b32_e32 v19, 3, v0
	s_lshl_b64 s[8:9], s[12:13], 3
	s_mov_b32 s2, s15
	s_delay_alu instid0(VALU_DEP_1)
	v_or_b32_e32 v20, 7, v19
	v_or_b32_e32 v21, 6, v19
	;; [unrolled: 1-line block ×7, first 2 shown]
	v_add_nc_u32_e32 v27, -8, v19
	s_waitcnt lgkmcnt(0)
	s_add_u32 s4, s4, s8
	s_addc_u32 s5, s5, s9
	v_add_co_u32 v5, s3, s4, v19
	s_delay_alu instid0(VALU_DEP_1)
	v_add_co_ci_u32_e64 v6, null, s5, 0, s3
	s_clause 0x1
	global_load_b64 v[3:4], v19, s[4:5]
	global_load_b64 v[1:2], v19, s[4:5] offset:2048
	v_add_co_u32 v7, vcc_lo, 0x1000, v5
	v_add_co_ci_u32_e32 v8, vcc_lo, 0, v6, vcc_lo
	v_add_co_u32 v9, vcc_lo, v5, 0x2000
	v_add_co_ci_u32_e32 v10, vcc_lo, 0, v6, vcc_lo
	;; [unrolled: 2-line block ×4, first 2 shown]
	s_clause 0x5
	global_load_b64 v[5:6], v[9:10], off offset:-4096
	global_load_b64 v[15:16], v[9:10], off
	global_load_b64 v[13:14], v[7:8], off offset:2048
	global_load_b64 v[11:12], v[11:12], off offset:2048
	global_load_b64 v[9:10], v[17:18], off
	global_load_b64 v[7:8], v[17:18], off offset:2048
	s_load_b32 s4, s[0:1], 0x18
	s_mov_b32 s3, s13
	v_cmp_ne_u32_e32 vcc_lo, 0, v0
	s_lshl_b64 s[0:1], s[2:3], 2
	s_delay_alu instid0(SALU_CYCLE_1)
	s_add_u32 s0, s6, s0
	s_addc_u32 s1, s7, s1
	s_load_b32 s5, s[0:1], 0x0
	s_waitcnt lgkmcnt(0)
	v_cvt_f32_u32_e32 v17, s4
	s_sub_i32 s3, 0, s4
	s_delay_alu instid0(VALU_DEP_1) | instskip(SKIP_2) | instid1(VALU_DEP_1)
	v_rcp_iflag_f32_e32 v17, v17
	s_waitcnt_depctr 0xfff
	v_mul_f32_e32 v17, 0x4f7ffffe, v17
	v_cvt_u32_f32_e32 v17, v17
	s_delay_alu instid0(VALU_DEP_1) | instskip(NEXT) | instid1(VALU_DEP_1)
	v_readfirstlane_b32 s2, v17
	s_mul_i32 s3, s3, s2
	s_delay_alu instid0(SALU_CYCLE_1) | instskip(NEXT) | instid1(SALU_CYCLE_1)
	s_mul_hi_u32 s3, s2, s3
	s_add_i32 s2, s2, s3
	s_delay_alu instid0(SALU_CYCLE_1) | instskip(NEXT) | instid1(SALU_CYCLE_1)
	s_lshr_b32 s2, s2, 21
	s_mul_i32 s3, s2, s4
	s_add_i32 s6, s2, 1
	s_sub_i32 s3, 0x800, s3
	s_delay_alu instid0(SALU_CYCLE_1)
	s_sub_i32 s7, s3, s4
	s_cmp_ge_u32 s3, s4
	s_cselect_b32 s0, s6, s2
	s_cselect_b32 s1, s7, s3
	s_add_i32 s2, s0, 1
	s_cmp_ge_u32 s1, s4
	s_cselect_b32 s6, s2, s0
	s_max_u32 s7, s4, 1
	s_add_i32 s6, s6, 1
	s_branch .LBB177_2
.LBB177_1:                              ;   in Loop: Header=BB177_2 Depth=1
	s_or_b32 exec_lo, exec_lo, s0
	v_add_f64 v[28:29], v[7:8], -v[9:10]
	v_add_f64 v[30:31], v[9:10], -v[11:12]
	;; [unrolled: 1-line block ×7, first 2 shown]
	s_waitcnt lgkmcnt(0)
	v_add_f64 v[17:18], v[3:4], -v[17:18]
	v_cmp_gt_u32_e64 s0, s5, v21
	v_cmp_gt_u32_e64 s1, s5, v20
	;; [unrolled: 1-line block ×5, first 2 shown]
	s_add_i32 s7, s7, -1
	s_barrier
	buffer_gl0_inv
	v_cndmask_b32_e64 v29, v8, v29, s1
	v_cndmask_b32_e64 v28, v7, v28, s1
	;; [unrolled: 1-line block ×6, first 2 shown]
	v_cmp_gt_u32_e64 s0, s5, v23
	v_cmp_gt_u32_e64 s1, s5, v24
	;; [unrolled: 1-line block ×3, first 2 shown]
	v_cndmask_b32_e64 v41, v2, v41, s3
	v_cndmask_b32_e64 v18, v4, v18, s4
	;; [unrolled: 1-line block ×10, first 2 shown]
	v_add_f64 v[3:4], v[3:4], v[17:18]
	v_add_f64 v[1:2], v[1:2], v[40:41]
	;; [unrolled: 1-line block ×8, first 2 shown]
	s_add_i32 s0, s6, s5
	s_delay_alu instid0(SALU_CYCLE_1)
	s_and_b32 s5, s0, 0x7ff
	s_cmp_lg_u32 s7, 0
	s_cbranch_scc0 .LBB177_4
.LBB177_2:                              ; =>This Inner Loop Header: Depth=1
	v_mov_b32_e32 v17, 0
	v_mov_b32_e32 v18, 0x405ec000
	s_waitcnt vmcnt(0)
	ds_store_b64 v19, v[7:8]
	s_waitcnt lgkmcnt(0)
	s_barrier
	buffer_gl0_inv
	s_and_saveexec_b32 s0, vcc_lo
	s_cbranch_execz .LBB177_1
; %bb.3:                                ;   in Loop: Header=BB177_2 Depth=1
	ds_load_b64 v[17:18], v27
	s_branch .LBB177_1
.LBB177_4:
	v_lshlrev_b32_e32 v0, 3, v0
	s_add_u32 s0, s10, s8
	s_addc_u32 s1, s11, s9
	s_delay_alu instid0(VALU_DEP_1) | instskip(NEXT) | instid1(VALU_DEP_1)
	v_add_co_u32 v23, s2, s0, v0
	v_add_co_ci_u32_e64 v24, null, s1, 0, s2
	s_delay_alu instid0(VALU_DEP_2) | instskip(NEXT) | instid1(VALU_DEP_2)
	v_add_co_u32 v17, vcc_lo, 0x1000, v23
	v_add_co_ci_u32_e32 v18, vcc_lo, 0, v24, vcc_lo
	v_add_co_u32 v19, vcc_lo, v23, 0x2000
	v_add_co_ci_u32_e32 v20, vcc_lo, 0, v24, vcc_lo
	;; [unrolled: 2-line block ×3, first 2 shown]
	global_store_b64 v[19:20], v[15:16], off
	v_add_co_u32 v15, vcc_lo, 0x3000, v23
	v_add_co_ci_u32_e32 v16, vcc_lo, 0, v24, vcc_lo
	s_clause 0x6
	global_store_b64 v0, v[3:4], s[0:1]
	global_store_b64 v0, v[1:2], s[0:1] offset:2048
	global_store_b64 v[17:18], v[13:14], off offset:2048
	global_store_b64 v[21:22], v[11:12], off offset:2048
	global_store_b64 v[15:16], v[9:10], off
	global_store_b64 v[19:20], v[5:6], off offset:-4096
	global_store_b64 v[15:16], v[7:8], off offset:2048
	s_nop 0
	s_sendmsg sendmsg(MSG_DEALLOC_VGPRS)
	s_endpgm
	.section	.rodata,"a",@progbits
	.p2align	6, 0x0
	.amdhsa_kernel _Z6kernelI26subtract_left_partial_tileLj256ELj8ELb1EJPdPiS1_jEEvDpT3_
		.amdhsa_group_segment_fixed_size 4096
		.amdhsa_private_segment_fixed_size 0
		.amdhsa_kernarg_size 28
		.amdhsa_user_sgpr_count 15
		.amdhsa_user_sgpr_dispatch_ptr 0
		.amdhsa_user_sgpr_queue_ptr 0
		.amdhsa_user_sgpr_kernarg_segment_ptr 1
		.amdhsa_user_sgpr_dispatch_id 0
		.amdhsa_user_sgpr_private_segment_size 0
		.amdhsa_wavefront_size32 1
		.amdhsa_uses_dynamic_stack 0
		.amdhsa_enable_private_segment 0
		.amdhsa_system_sgpr_workgroup_id_x 1
		.amdhsa_system_sgpr_workgroup_id_y 0
		.amdhsa_system_sgpr_workgroup_id_z 0
		.amdhsa_system_sgpr_workgroup_info 0
		.amdhsa_system_vgpr_workitem_id 0
		.amdhsa_next_free_vgpr 42
		.amdhsa_next_free_sgpr 16
		.amdhsa_reserve_vcc 1
		.amdhsa_float_round_mode_32 0
		.amdhsa_float_round_mode_16_64 0
		.amdhsa_float_denorm_mode_32 3
		.amdhsa_float_denorm_mode_16_64 3
		.amdhsa_dx10_clamp 1
		.amdhsa_ieee_mode 1
		.amdhsa_fp16_overflow 0
		.amdhsa_workgroup_processor_mode 1
		.amdhsa_memory_ordered 1
		.amdhsa_forward_progress 0
		.amdhsa_shared_vgpr_count 0
		.amdhsa_exception_fp_ieee_invalid_op 0
		.amdhsa_exception_fp_denorm_src 0
		.amdhsa_exception_fp_ieee_div_zero 0
		.amdhsa_exception_fp_ieee_overflow 0
		.amdhsa_exception_fp_ieee_underflow 0
		.amdhsa_exception_fp_ieee_inexact 0
		.amdhsa_exception_int_div_zero 0
	.end_amdhsa_kernel
	.section	.text._Z6kernelI26subtract_left_partial_tileLj256ELj8ELb1EJPdPiS1_jEEvDpT3_,"axG",@progbits,_Z6kernelI26subtract_left_partial_tileLj256ELj8ELb1EJPdPiS1_jEEvDpT3_,comdat
.Lfunc_end177:
	.size	_Z6kernelI26subtract_left_partial_tileLj256ELj8ELb1EJPdPiS1_jEEvDpT3_, .Lfunc_end177-_Z6kernelI26subtract_left_partial_tileLj256ELj8ELb1EJPdPiS1_jEEvDpT3_
                                        ; -- End function
	.section	.AMDGPU.csdata,"",@progbits
; Kernel info:
; codeLenInByte = 1020
; NumSgprs: 18
; NumVgprs: 42
; ScratchSize: 0
; MemoryBound: 0
; FloatMode: 240
; IeeeMode: 1
; LDSByteSize: 4096 bytes/workgroup (compile time only)
; SGPRBlocks: 2
; VGPRBlocks: 5
; NumSGPRsForWavesPerEU: 18
; NumVGPRsForWavesPerEU: 42
; Occupancy: 16
; WaveLimiterHint : 1
; COMPUTE_PGM_RSRC2:SCRATCH_EN: 0
; COMPUTE_PGM_RSRC2:USER_SGPR: 15
; COMPUTE_PGM_RSRC2:TRAP_HANDLER: 0
; COMPUTE_PGM_RSRC2:TGID_X_EN: 1
; COMPUTE_PGM_RSRC2:TGID_Y_EN: 0
; COMPUTE_PGM_RSRC2:TGID_Z_EN: 0
; COMPUTE_PGM_RSRC2:TIDIG_COMP_CNT: 0
	.section	.text._Z6kernelI26subtract_left_partial_tileLj256ELj16ELb1EJPdPiS1_jEEvDpT3_,"axG",@progbits,_Z6kernelI26subtract_left_partial_tileLj256ELj16ELb1EJPdPiS1_jEEvDpT3_,comdat
	.protected	_Z6kernelI26subtract_left_partial_tileLj256ELj16ELb1EJPdPiS1_jEEvDpT3_ ; -- Begin function _Z6kernelI26subtract_left_partial_tileLj256ELj16ELb1EJPdPiS1_jEEvDpT3_
	.globl	_Z6kernelI26subtract_left_partial_tileLj256ELj16ELb1EJPdPiS1_jEEvDpT3_
	.p2align	8
	.type	_Z6kernelI26subtract_left_partial_tileLj256ELj16ELb1EJPdPiS1_jEEvDpT3_,@function
_Z6kernelI26subtract_left_partial_tileLj256ELj16ELb1EJPdPiS1_jEEvDpT3_: ; @_Z6kernelI26subtract_left_partial_tileLj256ELj16ELb1EJPdPiS1_jEEvDpT3_
; %bb.0:
	s_clause 0x1
	s_load_b128 s[4:7], s[0:1], 0x0
	s_load_b64 s[10:11], s[0:1], 0x10
	s_mov_b32 s13, 0
	s_lshl_b32 s12, s15, 12
	v_lshlrev_b32_e32 v35, 3, v0
	s_lshl_b64 s[8:9], s[12:13], 3
	s_mov_b32 s2, s15
	v_lshlrev_b32_e32 v36, 4, v0
	s_delay_alu instid0(VALU_DEP_2) | instskip(NEXT) | instid1(VALU_DEP_2)
	v_add_nc_u32_e32 v52, -8, v35
	v_or_b32_e32 v37, 15, v36
	v_or_b32_e32 v38, 14, v36
	;; [unrolled: 1-line block ×8, first 2 shown]
	s_waitcnt lgkmcnt(0)
	s_add_u32 s4, s4, s8
	s_addc_u32 s5, s5, s9
	v_add_co_u32 v21, s3, s4, v35
	s_delay_alu instid0(VALU_DEP_1)
	v_add_co_ci_u32_e64 v22, null, s5, 0, s3
	s_clause 0x1
	global_load_b64 v[11:12], v35, s[4:5]
	global_load_b64 v[9:10], v35, s[4:5] offset:2048
	v_add_co_u32 v3, vcc_lo, 0x1000, v21
	v_add_co_ci_u32_e32 v4, vcc_lo, 0, v22, vcc_lo
	v_add_co_u32 v5, vcc_lo, v21, 0x2000
	v_add_co_ci_u32_e32 v6, vcc_lo, 0, v22, vcc_lo
	;; [unrolled: 2-line block ×6, first 2 shown]
	s_clause 0x7
	global_load_b64 v[1:2], v[5:6], off offset:-4096
	global_load_b64 v[27:28], v[5:6], off
	global_load_b64 v[7:8], v[13:14], off offset:-4096
	global_load_b64 v[13:14], v[13:14], off
	global_load_b64 v[31:32], v[3:4], off offset:2048
	global_load_b64 v[29:30], v[15:16], off offset:2048
	;; [unrolled: 1-line block ×4, first 2 shown]
	v_add_co_u32 v15, vcc_lo, 0x5000, v21
	v_add_co_ci_u32_e32 v16, vcc_lo, 0, v22, vcc_lo
	v_add_co_u32 v17, vcc_lo, v21, 0x6000
	v_add_co_ci_u32_e32 v18, vcc_lo, 0, v22, vcc_lo
	;; [unrolled: 2-line block ×4, first 2 shown]
	s_clause 0x5
	global_load_b64 v[25:26], v[17:18], off offset:-4096
	global_load_b64 v[23:24], v[17:18], off
	global_load_b64 v[21:22], v[15:16], off offset:2048
	global_load_b64 v[19:20], v[19:20], off offset:2048
	global_load_b64 v[17:18], v[33:34], off
	global_load_b64 v[15:16], v[33:34], off offset:2048
	s_load_b32 s4, s[0:1], 0x18
	s_mov_b32 s3, s13
	v_or_b32_e32 v45, 7, v36
	s_lshl_b64 s[0:1], s[2:3], 2
	v_or_b32_e32 v46, 6, v36
	s_add_u32 s0, s6, s0
	s_addc_u32 s1, s7, s1
	v_or_b32_e32 v47, 5, v36
	s_load_b32 s12, s[0:1], 0x0
	v_or_b32_e32 v48, 4, v36
	v_or_b32_e32 v49, 3, v36
	;; [unrolled: 1-line block ×4, first 2 shown]
	v_cmp_ne_u32_e32 vcc_lo, 0, v0
	s_waitcnt lgkmcnt(0)
	v_cvt_f32_u32_e32 v33, s4
	s_sub_i32 s3, 0, s4
	s_delay_alu instid0(VALU_DEP_1) | instskip(SKIP_2) | instid1(VALU_DEP_1)
	v_rcp_iflag_f32_e32 v33, v33
	s_waitcnt_depctr 0xfff
	v_mul_f32_e32 v33, 0x4f7ffffe, v33
	v_cvt_u32_f32_e32 v33, v33
	s_delay_alu instid0(VALU_DEP_1) | instskip(NEXT) | instid1(VALU_DEP_1)
	v_readfirstlane_b32 s2, v33
	s_mul_i32 s3, s3, s2
	s_delay_alu instid0(SALU_CYCLE_1) | instskip(NEXT) | instid1(SALU_CYCLE_1)
	s_mul_hi_u32 s3, s2, s3
	s_add_i32 s2, s2, s3
	s_delay_alu instid0(SALU_CYCLE_1) | instskip(NEXT) | instid1(SALU_CYCLE_1)
	s_lshr_b32 s2, s2, 20
	s_mul_i32 s3, s2, s4
	s_add_i32 s5, s2, 1
	s_sub_i32 s3, 0x1000, s3
	s_delay_alu instid0(SALU_CYCLE_1)
	s_sub_i32 s6, s3, s4
	s_cmp_ge_u32 s3, s4
	s_cselect_b32 s2, s5, s2
	s_cselect_b32 s3, s6, s3
	s_add_i32 s5, s2, 1
	s_cmp_ge_u32 s3, s4
	s_cselect_b32 s13, s5, s2
	s_max_u32 s14, s4, 1
	s_add_i32 s13, s13, 1
	s_branch .LBB178_2
.LBB178_1:                              ;   in Loop: Header=BB178_2 Depth=1
	s_or_b32 exec_lo, exec_lo, s0
	v_add_f64 v[55:56], v[17:18], -v[19:20]
	v_add_f64 v[57:58], v[19:20], -v[23:24]
	v_add_f64 v[59:60], v[23:24], -v[21:22]
	v_add_f64 v[53:54], v[15:16], -v[17:18]
	v_add_f64 v[61:62], v[21:22], -v[25:26]
	v_add_f64 v[69:70], v[5:6], -v[7:8]
	v_add_f64 v[71:72], v[7:8], -v[29:30]
	v_add_f64 v[73:74], v[29:30], -v[27:28]
	v_add_f64 v[63:64], v[25:26], -v[3:4]
	v_add_f64 v[65:66], v[3:4], -v[13:14]
	v_add_f64 v[67:68], v[13:14], -v[5:6]
	v_add_f64 v[75:76], v[27:28], -v[31:32]
	v_add_f64 v[77:78], v[31:32], -v[1:2]
	v_add_f64 v[79:80], v[1:2], -v[9:10]
	v_add_f64 v[81:82], v[9:10], -v[11:12]
	s_waitcnt lgkmcnt(0)
	v_add_f64 v[33:34], v[11:12], -v[33:34]
	v_cmp_gt_u32_e64 s0, s12, v38
	v_cmp_gt_u32_e64 s1, s12, v39
	;; [unrolled: 1-line block ×8, first 2 shown]
	s_add_i32 s14, s14, -1
	s_barrier
	buffer_gl0_inv
	v_cndmask_b32_e64 v56, v18, v56, s0
	v_cndmask_b32_e64 v55, v17, v55, s0
	;; [unrolled: 1-line block ×6, first 2 shown]
	v_cmp_gt_u32_e64 s0, s12, v45
	v_cmp_gt_u32_e64 s1, s12, v46
	;; [unrolled: 1-line block ×3, first 2 shown]
	v_cndmask_b32_e64 v54, v16, v54, s4
	v_cndmask_b32_e64 v53, v15, v53, s4
	;; [unrolled: 1-line block ×10, first 2 shown]
	v_cmp_gt_u32_e64 s0, s12, v48
	v_cmp_gt_u32_e64 s1, s12, v49
	;; [unrolled: 1-line block ×5, first 2 shown]
	v_cndmask_b32_e64 v64, v26, v64, s5
	v_cndmask_b32_e64 v63, v25, v63, s5
	v_cndmask_b32_e64 v66, v4, v66, s6
	v_cndmask_b32_e64 v65, v3, v65, s6
	v_cndmask_b32_e64 v68, v14, v68, s7
	v_cndmask_b32_e64 v67, v13, v67, s7
	v_cndmask_b32_e64 v76, v28, v76, s0
	v_cndmask_b32_e64 v78, v32, v78, s1
	v_cndmask_b32_e64 v80, v2, v80, s4
	v_cndmask_b32_e64 v82, v10, v82, s2
	v_cndmask_b32_e64 v34, v12, v34, s3
	v_cndmask_b32_e64 v33, v11, v33, s3
	v_cndmask_b32_e64 v81, v9, v81, s2
	v_cndmask_b32_e64 v79, v1, v79, s4
	v_cndmask_b32_e64 v77, v31, v77, s1
	v_cndmask_b32_e64 v75, v27, v75, s0
	v_add_f64 v[11:12], v[11:12], v[33:34]
	v_add_f64 v[9:10], v[9:10], v[81:82]
	;; [unrolled: 1-line block ×16, first 2 shown]
	s_add_i32 s0, s13, s12
	s_delay_alu instid0(SALU_CYCLE_1)
	s_and_b32 s12, s0, 0xfff
	s_cmp_lg_u32 s14, 0
	s_cbranch_scc0 .LBB178_4
.LBB178_2:                              ; =>This Inner Loop Header: Depth=1
	v_mov_b32_e32 v33, 0
	v_mov_b32_e32 v34, 0x405ec000
	s_waitcnt vmcnt(0)
	ds_store_b64 v35, v[15:16]
	s_waitcnt lgkmcnt(0)
	s_barrier
	buffer_gl0_inv
	s_and_saveexec_b32 s0, vcc_lo
	s_cbranch_execz .LBB178_1
; %bb.3:                                ;   in Loop: Header=BB178_2 Depth=1
	ds_load_b64 v[33:34], v52
	s_branch .LBB178_1
.LBB178_4:
	v_lshlrev_b32_e32 v0, 3, v0
	s_add_u32 s0, s10, s8
	s_addc_u32 s1, s11, s9
	s_delay_alu instid0(VALU_DEP_1) | instskip(NEXT) | instid1(VALU_DEP_1)
	v_add_co_u32 v39, s2, s0, v0
	v_add_co_ci_u32_e64 v40, null, s1, 0, s2
	s_delay_alu instid0(VALU_DEP_2) | instskip(NEXT) | instid1(VALU_DEP_2)
	v_add_co_u32 v33, vcc_lo, 0x1000, v39
	v_add_co_ci_u32_e32 v34, vcc_lo, 0, v40, vcc_lo
	v_add_co_u32 v35, vcc_lo, v39, 0x2000
	v_add_co_ci_u32_e32 v36, vcc_lo, 0, v40, vcc_lo
	;; [unrolled: 2-line block ×3, first 2 shown]
	s_clause 0x4
	global_store_b64 v[35:36], v[27:28], off
	global_store_b64 v0, v[11:12], s[0:1]
	global_store_b64 v0, v[9:10], s[0:1] offset:2048
	global_store_b64 v[33:34], v[31:32], off offset:2048
	global_store_b64 v[37:38], v[29:30], off offset:2048
	v_add_co_u32 v9, vcc_lo, 0x3000, v39
	v_add_co_ci_u32_e32 v10, vcc_lo, 0, v40, vcc_lo
	v_add_co_u32 v11, vcc_lo, v39, 0x4000
	v_add_co_ci_u32_e32 v12, vcc_lo, 0, v40, vcc_lo
	;; [unrolled: 2-line block ×6, first 2 shown]
	s_clause 0x3
	global_store_b64 v[11:12], v[7:8], off offset:-4096
	global_store_b64 v[11:12], v[13:14], off
	global_store_b64 v[31:32], v[25:26], off offset:-4096
	global_store_b64 v[31:32], v[23:24], off
	v_add_co_u32 v7, vcc_lo, 0x7000, v39
	v_add_co_ci_u32_e32 v8, vcc_lo, 0, v40, vcc_lo
	s_clause 0x6
	global_store_b64 v[9:10], v[5:6], off offset:2048
	global_store_b64 v[27:28], v[3:4], off offset:2048
	;; [unrolled: 1-line block ×4, first 2 shown]
	global_store_b64 v[7:8], v[17:18], off
	global_store_b64 v[35:36], v[1:2], off offset:-4096
	global_store_b64 v[7:8], v[15:16], off offset:2048
	s_nop 0
	s_sendmsg sendmsg(MSG_DEALLOC_VGPRS)
	s_endpgm
	.section	.rodata,"a",@progbits
	.p2align	6, 0x0
	.amdhsa_kernel _Z6kernelI26subtract_left_partial_tileLj256ELj16ELb1EJPdPiS1_jEEvDpT3_
		.amdhsa_group_segment_fixed_size 4096
		.amdhsa_private_segment_fixed_size 0
		.amdhsa_kernarg_size 28
		.amdhsa_user_sgpr_count 15
		.amdhsa_user_sgpr_dispatch_ptr 0
		.amdhsa_user_sgpr_queue_ptr 0
		.amdhsa_user_sgpr_kernarg_segment_ptr 1
		.amdhsa_user_sgpr_dispatch_id 0
		.amdhsa_user_sgpr_private_segment_size 0
		.amdhsa_wavefront_size32 1
		.amdhsa_uses_dynamic_stack 0
		.amdhsa_enable_private_segment 0
		.amdhsa_system_sgpr_workgroup_id_x 1
		.amdhsa_system_sgpr_workgroup_id_y 0
		.amdhsa_system_sgpr_workgroup_id_z 0
		.amdhsa_system_sgpr_workgroup_info 0
		.amdhsa_system_vgpr_workitem_id 0
		.amdhsa_next_free_vgpr 83
		.amdhsa_next_free_sgpr 16
		.amdhsa_reserve_vcc 1
		.amdhsa_float_round_mode_32 0
		.amdhsa_float_round_mode_16_64 0
		.amdhsa_float_denorm_mode_32 3
		.amdhsa_float_denorm_mode_16_64 3
		.amdhsa_dx10_clamp 1
		.amdhsa_ieee_mode 1
		.amdhsa_fp16_overflow 0
		.amdhsa_workgroup_processor_mode 1
		.amdhsa_memory_ordered 1
		.amdhsa_forward_progress 0
		.amdhsa_shared_vgpr_count 0
		.amdhsa_exception_fp_ieee_invalid_op 0
		.amdhsa_exception_fp_denorm_src 0
		.amdhsa_exception_fp_ieee_div_zero 0
		.amdhsa_exception_fp_ieee_overflow 0
		.amdhsa_exception_fp_ieee_underflow 0
		.amdhsa_exception_fp_ieee_inexact 0
		.amdhsa_exception_int_div_zero 0
	.end_amdhsa_kernel
	.section	.text._Z6kernelI26subtract_left_partial_tileLj256ELj16ELb1EJPdPiS1_jEEvDpT3_,"axG",@progbits,_Z6kernelI26subtract_left_partial_tileLj256ELj16ELb1EJPdPiS1_jEEvDpT3_,comdat
.Lfunc_end178:
	.size	_Z6kernelI26subtract_left_partial_tileLj256ELj16ELb1EJPdPiS1_jEEvDpT3_, .Lfunc_end178-_Z6kernelI26subtract_left_partial_tileLj256ELj16ELb1EJPdPiS1_jEEvDpT3_
                                        ; -- End function
	.section	.AMDGPU.csdata,"",@progbits
; Kernel info:
; codeLenInByte = 1704
; NumSgprs: 18
; NumVgprs: 83
; ScratchSize: 0
; MemoryBound: 0
; FloatMode: 240
; IeeeMode: 1
; LDSByteSize: 4096 bytes/workgroup (compile time only)
; SGPRBlocks: 2
; VGPRBlocks: 10
; NumSGPRsForWavesPerEU: 18
; NumVGPRsForWavesPerEU: 83
; Occupancy: 16
; WaveLimiterHint : 1
; COMPUTE_PGM_RSRC2:SCRATCH_EN: 0
; COMPUTE_PGM_RSRC2:USER_SGPR: 15
; COMPUTE_PGM_RSRC2:TRAP_HANDLER: 0
; COMPUTE_PGM_RSRC2:TGID_X_EN: 1
; COMPUTE_PGM_RSRC2:TGID_Y_EN: 0
; COMPUTE_PGM_RSRC2:TGID_Z_EN: 0
; COMPUTE_PGM_RSRC2:TIDIG_COMP_CNT: 0
	.section	.text._Z6kernelI26subtract_left_partial_tileLj256ELj32ELb1EJPdPiS1_jEEvDpT3_,"axG",@progbits,_Z6kernelI26subtract_left_partial_tileLj256ELj32ELb1EJPdPiS1_jEEvDpT3_,comdat
	.protected	_Z6kernelI26subtract_left_partial_tileLj256ELj32ELb1EJPdPiS1_jEEvDpT3_ ; -- Begin function _Z6kernelI26subtract_left_partial_tileLj256ELj32ELb1EJPdPiS1_jEEvDpT3_
	.globl	_Z6kernelI26subtract_left_partial_tileLj256ELj32ELb1EJPdPiS1_jEEvDpT3_
	.p2align	8
	.type	_Z6kernelI26subtract_left_partial_tileLj256ELj32ELb1EJPdPiS1_jEEvDpT3_,@function
_Z6kernelI26subtract_left_partial_tileLj256ELj32ELb1EJPdPiS1_jEEvDpT3_: ; @_Z6kernelI26subtract_left_partial_tileLj256ELj32ELb1EJPdPiS1_jEEvDpT3_
; %bb.0:
	s_clause 0x1
	s_load_b128 s[4:7], s[0:1], 0x0
	s_load_b64 s[10:11], s[0:1], 0x10
	s_mov_b32 s13, 0
	s_lshl_b32 s12, s15, 13
	v_lshlrev_b32_e32 v67, 3, v0
	s_lshl_b64 s[8:9], s[12:13], 3
	s_mov_b32 s2, s15
	v_lshlrev_b32_e32 v68, 5, v0
	s_delay_alu instid0(VALU_DEP_2) | instskip(NEXT) | instid1(VALU_DEP_2)
	v_add_nc_u32_e32 v100, -8, v67
	v_or_b32_e32 v69, 31, v68
	v_or_b32_e32 v70, 30, v68
	;; [unrolled: 1-line block ×8, first 2 shown]
	s_waitcnt lgkmcnt(0)
	s_add_u32 s4, s4, s8
	s_addc_u32 s5, s5, s9
	v_add_co_u32 v49, s3, s4, v67
	s_delay_alu instid0(VALU_DEP_1) | instskip(SKIP_1) | instid1(VALU_DEP_2)
	v_add_co_ci_u32_e64 v50, null, s5, 0, s3
	s_mov_b32 s3, s13
	v_add_co_u32 v3, vcc_lo, 0x1000, v49
	s_delay_alu instid0(VALU_DEP_2)
	v_add_co_ci_u32_e32 v4, vcc_lo, 0, v50, vcc_lo
	v_add_co_u32 v5, vcc_lo, v49, 0x2000
	v_add_co_ci_u32_e32 v6, vcc_lo, 0, v50, vcc_lo
	v_add_co_u32 v7, vcc_lo, 0x2000, v49
	v_add_co_ci_u32_e32 v8, vcc_lo, 0, v50, vcc_lo
	v_add_co_u32 v9, vcc_lo, 0x3000, v49
	v_add_co_ci_u32_e32 v10, vcc_lo, 0, v50, vcc_lo
	v_add_co_u32 v11, vcc_lo, v49, 0x4000
	v_add_co_ci_u32_e32 v12, vcc_lo, 0, v50, vcc_lo
	v_add_co_u32 v15, vcc_lo, 0x4000, v49
	v_add_co_ci_u32_e32 v16, vcc_lo, 0, v50, vcc_lo
	s_clause 0x7
	global_load_b64 v[1:2], v[5:6], off offset:-4096
	global_load_b64 v[21:22], v[5:6], off
	global_load_b64 v[13:14], v[11:12], off offset:-4096
	global_load_b64 v[17:18], v[11:12], off
	global_load_b64 v[31:32], v[3:4], off offset:2048
	global_load_b64 v[29:30], v[7:8], off offset:2048
	global_load_b64 v[11:12], v[9:10], off offset:2048
	global_load_b64 v[9:10], v[15:16], off offset:2048
	v_add_co_u32 v3, vcc_lo, 0x5000, v49
	v_add_co_ci_u32_e32 v4, vcc_lo, 0, v50, vcc_lo
	v_add_co_u32 v5, vcc_lo, v49, 0x6000
	v_add_co_ci_u32_e32 v6, vcc_lo, 0, v50, vcc_lo
	v_add_co_u32 v23, vcc_lo, 0x6000, v49
	v_add_co_ci_u32_e32 v24, vcc_lo, 0, v50, vcc_lo
	v_add_co_u32 v33, vcc_lo, 0x7000, v49
	v_add_co_ci_u32_e32 v34, vcc_lo, 0, v50, vcc_lo
	v_add_co_u32 v15, vcc_lo, v49, 0x8000
	v_add_co_ci_u32_e32 v16, vcc_lo, 0, v50, vcc_lo
	v_add_co_u32 v35, vcc_lo, 0x8000, v49
	v_add_co_ci_u32_e32 v36, vcc_lo, 0, v50, vcc_lo
	s_clause 0x7
	global_load_b64 v[27:28], v[5:6], off offset:-4096
	global_load_b64 v[19:20], v[5:6], off
	global_load_b64 v[7:8], v[15:16], off offset:-4096
	global_load_b64 v[15:16], v[15:16], off
	global_load_b64 v[25:26], v[3:4], off offset:2048
	global_load_b64 v[23:24], v[23:24], off offset:2048
	global_load_b64 v[5:6], v[33:34], off offset:2048
	global_load_b64 v[3:4], v[35:36], off offset:2048
	v_add_co_u32 v33, vcc_lo, 0x9000, v49
	;; [unrolled: 21-line block ×3, first 2 shown]
	v_add_co_ci_u32_e32 v42, vcc_lo, 0, v50, vcc_lo
	v_add_co_u32 v43, vcc_lo, v49, 0xe000
	v_add_co_ci_u32_e32 v44, vcc_lo, 0, v50, vcc_lo
	v_add_co_u32 v47, vcc_lo, 0xe000, v49
	;; [unrolled: 2-line block ×3, first 2 shown]
	v_add_co_ci_u32_e32 v62, vcc_lo, 0, v50, vcc_lo
	s_clause 0x7
	global_load_b64 v[51:52], v[43:44], off offset:-4096
	global_load_b64 v[45:46], v[43:44], off
	global_load_b64 v[49:50], v[41:42], off offset:2048
	global_load_b64 v[47:48], v[47:48], off offset:2048
	global_load_b64 v[43:44], v[61:62], off
	global_load_b64 v[41:42], v[61:62], off offset:2048
	global_load_b64 v[63:64], v67, s[4:5]
	global_load_b64 v[61:62], v67, s[4:5] offset:2048
	s_load_b32 s4, s[0:1], 0x18
	s_lshl_b64 s[0:1], s[2:3], 2
	v_or_b32_e32 v77, 23, v68
	s_add_u32 s0, s6, s0
	s_addc_u32 s1, s7, s1
	v_or_b32_e32 v78, 22, v68
	s_load_b32 s12, s[0:1], 0x0
	v_or_b32_e32 v79, 21, v68
	v_or_b32_e32 v80, 20, v68
	;; [unrolled: 1-line block ×13, first 2 shown]
	s_waitcnt lgkmcnt(0)
	v_cvt_f32_u32_e32 v65, s4
	s_sub_i32 s3, 0, s4
	v_or_b32_e32 v92, 8, v68
	v_or_b32_e32 v93, 7, v68
	;; [unrolled: 1-line block ×3, first 2 shown]
	v_rcp_iflag_f32_e32 v65, v65
	v_or_b32_e32 v95, 5, v68
	v_or_b32_e32 v96, 4, v68
	v_or_b32_e32 v97, 3, v68
	v_cmp_ne_u32_e32 vcc_lo, 0, v0
	v_or_b32_e32 v98, 2, v68
	v_or_b32_e32 v99, 1, v68
	s_delay_alu instid0(TRANS32_DEP_1) | instskip(NEXT) | instid1(VALU_DEP_1)
	v_mul_f32_e32 v65, 0x4f7ffffe, v65
	v_cvt_u32_f32_e32 v65, v65
	s_delay_alu instid0(VALU_DEP_1) | instskip(NEXT) | instid1(VALU_DEP_1)
	v_readfirstlane_b32 s2, v65
	s_mul_i32 s3, s3, s2
	s_delay_alu instid0(SALU_CYCLE_1) | instskip(NEXT) | instid1(SALU_CYCLE_1)
	s_mul_hi_u32 s3, s2, s3
	s_add_i32 s2, s2, s3
	s_delay_alu instid0(SALU_CYCLE_1) | instskip(NEXT) | instid1(SALU_CYCLE_1)
	s_lshr_b32 s2, s2, 19
	s_mul_i32 s3, s2, s4
	s_add_i32 s5, s2, 1
	s_sub_i32 s3, 0x2000, s3
	s_delay_alu instid0(SALU_CYCLE_1)
	s_sub_i32 s6, s3, s4
	s_cmp_ge_u32 s3, s4
	s_cselect_b32 s2, s5, s2
	s_cselect_b32 s3, s6, s3
	s_add_i32 s5, s2, 1
	s_cmp_ge_u32 s3, s4
	s_cselect_b32 s13, s5, s2
	s_max_u32 s14, s4, 1
	s_add_i32 s13, s13, 1
	s_branch .LBB179_2
.LBB179_1:                              ;   in Loop: Header=BB179_2 Depth=1
	s_or_b32 exec_lo, exec_lo, s0
	v_add_f64 v[103:104], v[43:44], -v[47:48]
	v_add_f64 v[117:118], v[35:36], -v[39:40]
	;; [unrolled: 1-line block ×11, first 2 shown]
	v_cmp_gt_u32_e64 s0, s12, v70
	v_add_f64 v[133:134], v[5:6], -v[7:8]
	v_add_f64 v[141:142], v[25:26], -v[27:28]
	;; [unrolled: 1-line block ×7, first 2 shown]
	v_cmp_gt_u32_e64 s1, s12, v71
	v_add_f64 v[121:122], v[55:56], -v[53:54]
	v_add_f64 v[147:148], v[17:18], -v[11:12]
	;; [unrolled: 1-line block ×5, first 2 shown]
	s_waitcnt lgkmcnt(0)
	v_add_f64 v[65:66], v[63:64], -v[65:66]
	v_add_f64 v[101:102], v[41:42], -v[43:44]
	;; [unrolled: 1-line block ×9, first 2 shown]
	v_cmp_gt_u32_e64 s2, s12, v72
	v_cmp_gt_u32_e64 s3, s12, v73
	;; [unrolled: 1-line block ×4, first 2 shown]
	v_cndmask_b32_e64 v104, v44, v104, s0
	v_cndmask_b32_e64 v103, v43, v103, s0
	v_cmp_gt_u32_e64 s0, s12, v77
	v_cndmask_b32_e64 v106, v48, v106, s1
	v_cndmask_b32_e64 v105, v47, v105, s1
	v_cmp_gt_u32_e64 s1, s12, v78
	v_cmp_gt_u32_e64 s6, s12, v69
	v_cndmask_b32_e64 v118, v36, v118, s0
	v_cndmask_b32_e64 v117, v35, v117, s0
	v_cmp_gt_u32_e64 s0, s12, v80
	v_cndmask_b32_e64 v120, v40, v120, s1
	v_cndmask_b32_e64 v119, v39, v119, s1
	v_cmp_gt_u32_e64 s1, s12, v81
	v_cmp_gt_u32_e64 s7, s12, v76
	v_cndmask_b32_e64 v124, v54, v124, s0
	v_cndmask_b32_e64 v123, v53, v123, s0
	v_cmp_gt_u32_e64 s0, s12, v82
	v_cndmask_b32_e64 v126, v58, v126, s1
	v_cndmask_b32_e64 v125, v57, v125, s1
	;; [unrolled: 3-line block ×3, first 2 shown]
	v_cndmask_b32_e64 v127, v59, v127, s0
	v_cmp_gt_u32_e64 s0, s12, v84
	v_cndmask_b32_e64 v130, v4, v130, s1
	v_cndmask_b32_e64 v129, v3, v129, s1
	v_cmp_gt_u32_e64 s1, s12, v85
	v_cndmask_b32_e64 v107, v45, v107, s2
	v_cndmask_b32_e64 v132, v16, v132, s0
	;; [unrolled: 1-line block ×3, first 2 shown]
	v_cmp_gt_u32_e64 s0, s12, v86
	v_cndmask_b32_e64 v134, v6, v134, s1
	v_cndmask_b32_e64 v133, v5, v133, s1
	v_cmp_gt_u32_e64 s1, s12, v88
	v_cmp_gt_u32_e64 s2, s12, v79
	v_cndmask_b32_e64 v136, v8, v136, s0
	v_cndmask_b32_e64 v135, v7, v135, s0
	v_cmp_gt_u32_e64 s0, s12, v87
	v_cndmask_b32_e64 v140, v20, v140, s1
	v_cndmask_b32_e64 v139, v19, v139, s1
	;; [unrolled: 3-line block ×3, first 2 shown]
	v_cndmask_b32_e64 v137, v23, v137, s0
	v_cmp_gt_u32_e64 s0, s12, v89
	v_cndmask_b32_e64 v144, v28, v144, s1
	v_cndmask_b32_e64 v143, v27, v143, s1
	v_cmp_gt_u32_e64 s1, s12, v92
	v_cndmask_b32_e64 v121, v55, v121, s2
	v_cndmask_b32_e64 v142, v26, v142, s0
	;; [unrolled: 1-line block ×3, first 2 shown]
	v_cmp_gt_u32_e64 s0, s12, v91
	v_cndmask_b32_e64 v148, v18, v148, s1
	v_cndmask_b32_e64 v147, v17, v147, s1
	v_cmp_gt_u32_e64 s1, s12, v94
	v_cmp_gt_u32_e64 s2, s12, v97
	v_cndmask_b32_e64 v146, v10, v146, s0
	v_cndmask_b32_e64 v145, v9, v145, s0
	v_cmp_gt_u32_e64 s0, s12, v93
	v_cndmask_b32_e64 v152, v14, v152, s1
	v_cndmask_b32_e64 v151, v13, v151, s1
	;; [unrolled: 1-line block ×6, first 2 shown]
	v_cmp_gt_u32_e64 s0, s12, v95
	v_cmp_gt_u32_e64 s1, s12, v98
	;; [unrolled: 1-line block ×3, first 2 shown]
	v_cndmask_b32_e64 v102, v42, v102, s6
	v_cndmask_b32_e64 v101, v41, v101, s6
	v_cndmask_b32_e64 v154, v30, v154, s0
	v_cndmask_b32_e64 v153, v29, v153, s0
	v_cmp_gt_u32_e64 s0, s12, v68
	v_cndmask_b32_e64 v110, v50, v110, s3
	v_cndmask_b32_e64 v109, v49, v109, s3
	;; [unrolled: 1-line block ×6, first 2 shown]
	v_cmp_gt_u32_e64 s0, s12, v96
	v_cndmask_b32_e64 v114, v34, v114, s5
	v_cndmask_b32_e64 v113, v33, v113, s5
	;; [unrolled: 1-line block ×10, first 2 shown]
	v_add_f64 v[63:64], v[63:64], v[65:66]
	v_add_f64 v[61:62], v[61:62], v[159:160]
	;; [unrolled: 1-line block ×32, first 2 shown]
	s_add_i32 s0, s13, s12
	s_add_i32 s14, s14, -1
	s_and_b32 s12, s0, 0x1fff
	s_cmp_lg_u32 s14, 0
	s_barrier
	buffer_gl0_inv
	s_cbranch_scc0 .LBB179_4
.LBB179_2:                              ; =>This Inner Loop Header: Depth=1
	v_mov_b32_e32 v65, 0
	v_mov_b32_e32 v66, 0x405ec000
	s_waitcnt vmcnt(2)
	ds_store_b64 v67, v[41:42]
	s_waitcnt vmcnt(0) lgkmcnt(0)
	s_barrier
	buffer_gl0_inv
	s_and_saveexec_b32 s0, vcc_lo
	s_cbranch_execz .LBB179_1
; %bb.3:                                ;   in Loop: Header=BB179_2 Depth=1
	ds_load_b64 v[65:66], v100
	s_branch .LBB179_1
.LBB179_4:
	v_lshlrev_b32_e32 v0, 3, v0
	s_add_u32 s0, s10, s8
	s_addc_u32 s1, s11, s9
	s_delay_alu instid0(VALU_DEP_1) | instskip(NEXT) | instid1(VALU_DEP_1)
	v_add_co_u32 v71, s2, s0, v0
	v_add_co_ci_u32_e64 v72, null, s1, 0, s2
	s_delay_alu instid0(VALU_DEP_2) | instskip(NEXT) | instid1(VALU_DEP_2)
	v_add_co_u32 v65, vcc_lo, 0x1000, v71
	v_add_co_ci_u32_e32 v66, vcc_lo, 0, v72, vcc_lo
	v_add_co_u32 v67, vcc_lo, v71, 0x2000
	v_add_co_ci_u32_e32 v68, vcc_lo, 0, v72, vcc_lo
	;; [unrolled: 2-line block ×3, first 2 shown]
	s_clause 0x4
	global_store_b64 v[67:68], v[21:22], off
	global_store_b64 v0, v[63:64], s[0:1]
	global_store_b64 v0, v[61:62], s[0:1] offset:2048
	global_store_b64 v[65:66], v[31:32], off offset:2048
	global_store_b64 v[69:70], v[29:30], off offset:2048
	v_add_co_u32 v21, vcc_lo, 0x3000, v71
	v_add_co_ci_u32_e32 v22, vcc_lo, 0, v72, vcc_lo
	v_add_co_u32 v29, vcc_lo, v71, 0x4000
	v_add_co_ci_u32_e32 v30, vcc_lo, 0, v72, vcc_lo
	;; [unrolled: 2-line block ×6, first 2 shown]
	s_clause 0x7
	global_store_b64 v[29:30], v[13:14], off offset:-4096
	global_store_b64 v[29:30], v[17:18], off
	global_store_b64 v[63:64], v[27:28], off offset:-4096
	global_store_b64 v[63:64], v[19:20], off
	global_store_b64 v[21:22], v[11:12], off offset:2048
	global_store_b64 v[31:32], v[9:10], off offset:2048
	;; [unrolled: 1-line block ×4, first 2 shown]
	v_add_co_u32 v9, vcc_lo, 0x7000, v71
	v_add_co_ci_u32_e32 v10, vcc_lo, 0, v72, vcc_lo
	v_add_co_u32 v11, vcc_lo, v71, 0x8000
	v_add_co_ci_u32_e32 v12, vcc_lo, 0, v72, vcc_lo
	;; [unrolled: 2-line block ×6, first 2 shown]
	s_clause 0x7
	global_store_b64 v[11:12], v[7:8], off offset:-4096
	global_store_b64 v[11:12], v[15:16], off
	global_store_b64 v[19:20], v[59:60], off offset:-4096
	global_store_b64 v[19:20], v[53:54], off
	global_store_b64 v[9:10], v[5:6], off offset:2048
	global_store_b64 v[13:14], v[3:4], off offset:2048
	;; [unrolled: 1-line block ×4, first 2 shown]
	v_add_co_u32 v3, vcc_lo, 0xb000, v71
	v_add_co_ci_u32_e32 v4, vcc_lo, 0, v72, vcc_lo
	v_add_co_u32 v5, vcc_lo, v71, 0xc000
	v_add_co_ci_u32_e32 v6, vcc_lo, 0, v72, vcc_lo
	;; [unrolled: 2-line block ×6, first 2 shown]
	s_clause 0x3
	global_store_b64 v[5:6], v[39:40], off offset:-4096
	global_store_b64 v[5:6], v[37:38], off
	global_store_b64 v[11:12], v[51:52], off offset:-4096
	global_store_b64 v[11:12], v[45:46], off
	v_add_co_u32 v5, vcc_lo, 0xf000, v71
	v_add_co_ci_u32_e32 v6, vcc_lo, 0, v72, vcc_lo
	s_clause 0x6
	global_store_b64 v[3:4], v[35:36], off offset:2048
	global_store_b64 v[7:8], v[33:34], off offset:2048
	;; [unrolled: 1-line block ×4, first 2 shown]
	global_store_b64 v[5:6], v[43:44], off
	global_store_b64 v[67:68], v[1:2], off offset:-4096
	global_store_b64 v[5:6], v[41:42], off offset:2048
	s_nop 0
	s_sendmsg sendmsg(MSG_DEALLOC_VGPRS)
	s_endpgm
	.section	.rodata,"a",@progbits
	.p2align	6, 0x0
	.amdhsa_kernel _Z6kernelI26subtract_left_partial_tileLj256ELj32ELb1EJPdPiS1_jEEvDpT3_
		.amdhsa_group_segment_fixed_size 4096
		.amdhsa_private_segment_fixed_size 0
		.amdhsa_kernarg_size 28
		.amdhsa_user_sgpr_count 15
		.amdhsa_user_sgpr_dispatch_ptr 0
		.amdhsa_user_sgpr_queue_ptr 0
		.amdhsa_user_sgpr_kernarg_segment_ptr 1
		.amdhsa_user_sgpr_dispatch_id 0
		.amdhsa_user_sgpr_private_segment_size 0
		.amdhsa_wavefront_size32 1
		.amdhsa_uses_dynamic_stack 0
		.amdhsa_enable_private_segment 0
		.amdhsa_system_sgpr_workgroup_id_x 1
		.amdhsa_system_sgpr_workgroup_id_y 0
		.amdhsa_system_sgpr_workgroup_id_z 0
		.amdhsa_system_sgpr_workgroup_info 0
		.amdhsa_system_vgpr_workitem_id 0
		.amdhsa_next_free_vgpr 163
		.amdhsa_next_free_sgpr 16
		.amdhsa_reserve_vcc 1
		.amdhsa_float_round_mode_32 0
		.amdhsa_float_round_mode_16_64 0
		.amdhsa_float_denorm_mode_32 3
		.amdhsa_float_denorm_mode_16_64 3
		.amdhsa_dx10_clamp 1
		.amdhsa_ieee_mode 1
		.amdhsa_fp16_overflow 0
		.amdhsa_workgroup_processor_mode 1
		.amdhsa_memory_ordered 1
		.amdhsa_forward_progress 0
		.amdhsa_shared_vgpr_count 0
		.amdhsa_exception_fp_ieee_invalid_op 0
		.amdhsa_exception_fp_denorm_src 0
		.amdhsa_exception_fp_ieee_div_zero 0
		.amdhsa_exception_fp_ieee_overflow 0
		.amdhsa_exception_fp_ieee_underflow 0
		.amdhsa_exception_fp_ieee_inexact 0
		.amdhsa_exception_int_div_zero 0
	.end_amdhsa_kernel
	.section	.text._Z6kernelI26subtract_left_partial_tileLj256ELj32ELb1EJPdPiS1_jEEvDpT3_,"axG",@progbits,_Z6kernelI26subtract_left_partial_tileLj256ELj32ELb1EJPdPiS1_jEEvDpT3_,comdat
.Lfunc_end179:
	.size	_Z6kernelI26subtract_left_partial_tileLj256ELj32ELb1EJPdPiS1_jEEvDpT3_, .Lfunc_end179-_Z6kernelI26subtract_left_partial_tileLj256ELj32ELb1EJPdPiS1_jEEvDpT3_
                                        ; -- End function
	.section	.AMDGPU.csdata,"",@progbits
; Kernel info:
; codeLenInByte = 3056
; NumSgprs: 18
; NumVgprs: 163
; ScratchSize: 0
; MemoryBound: 0
; FloatMode: 240
; IeeeMode: 1
; LDSByteSize: 4096 bytes/workgroup (compile time only)
; SGPRBlocks: 2
; VGPRBlocks: 20
; NumSGPRsForWavesPerEU: 18
; NumVGPRsForWavesPerEU: 163
; Occupancy: 9
; WaveLimiterHint : 1
; COMPUTE_PGM_RSRC2:SCRATCH_EN: 0
; COMPUTE_PGM_RSRC2:USER_SGPR: 15
; COMPUTE_PGM_RSRC2:TRAP_HANDLER: 0
; COMPUTE_PGM_RSRC2:TGID_X_EN: 1
; COMPUTE_PGM_RSRC2:TGID_Y_EN: 0
; COMPUTE_PGM_RSRC2:TGID_Z_EN: 0
; COMPUTE_PGM_RSRC2:TIDIG_COMP_CNT: 0
	.section	.text._Z6kernelI27subtract_right_partial_tileLj256ELj1ELb0EJPiS1_S1_jEEvDpT3_,"axG",@progbits,_Z6kernelI27subtract_right_partial_tileLj256ELj1ELb0EJPiS1_S1_jEEvDpT3_,comdat
	.protected	_Z6kernelI27subtract_right_partial_tileLj256ELj1ELb0EJPiS1_S1_jEEvDpT3_ ; -- Begin function _Z6kernelI27subtract_right_partial_tileLj256ELj1ELb0EJPiS1_S1_jEEvDpT3_
	.globl	_Z6kernelI27subtract_right_partial_tileLj256ELj1ELb0EJPiS1_S1_jEEvDpT3_
	.p2align	8
	.type	_Z6kernelI27subtract_right_partial_tileLj256ELj1ELb0EJPiS1_S1_jEEvDpT3_,@function
_Z6kernelI27subtract_right_partial_tileLj256ELj1ELb0EJPiS1_S1_jEEvDpT3_: ; @_Z6kernelI27subtract_right_partial_tileLj256ELj1ELb0EJPiS1_S1_jEEvDpT3_
; %bb.0:
	s_clause 0x1
	s_load_b128 s[8:11], s[0:1], 0x0
	s_load_b64 s[4:5], s[0:1], 0x10
	s_lshl_b32 s12, s15, 8
	s_mov_b32 s13, 0
	v_lshlrev_b32_e32 v2, 2, v0
	s_lshl_b64 s[2:3], s[12:13], 2
	s_mov_b32 s6, s15
	s_mov_b32 s7, s13
	s_waitcnt lgkmcnt(0)
	s_add_u32 s8, s8, s2
	s_addc_u32 s9, s9, s3
	global_load_b32 v1, v2, s[8:9]
	s_load_b32 s8, s[0:1], 0x18
	s_lshl_b64 s[0:1], s[6:7], 2
	s_delay_alu instid0(SALU_CYCLE_1)
	s_add_u32 s0, s10, s0
	s_addc_u32 s1, s11, s1
	s_load_b32 s0, s[0:1], 0x0
	s_waitcnt lgkmcnt(0)
	v_cvt_f32_u32_e32 v3, s8
	s_sub_i32 s7, 0, s8
	s_delay_alu instid0(VALU_DEP_1) | instskip(SKIP_3) | instid1(VALU_DEP_2)
	v_rcp_iflag_f32_e32 v3, v3
	s_waitcnt_depctr 0xfff
	v_mul_f32_e32 v3, 0x4f7ffffe, v3
	v_or_b32_e32 v4, 0x400, v2
	v_cvt_u32_f32_e32 v3, v3
	s_delay_alu instid0(VALU_DEP_1) | instskip(SKIP_1) | instid1(VALU_DEP_2)
	v_readfirstlane_b32 s6, v3
	v_add_nc_u32_e32 v3, 1, v0
	s_mul_i32 s7, s7, s6
	s_delay_alu instid0(SALU_CYCLE_1) | instskip(NEXT) | instid1(SALU_CYCLE_1)
	s_mul_hi_u32 s7, s6, s7
	s_add_i32 s6, s6, s7
	s_delay_alu instid0(SALU_CYCLE_1) | instskip(NEXT) | instid1(SALU_CYCLE_1)
	s_lshr_b32 s6, s6, 24
	s_mul_i32 s1, s6, s8
	s_add_i32 s7, s6, 1
	s_sub_i32 s1, 0x100, s1
	s_delay_alu instid0(SALU_CYCLE_1)
	s_sub_i32 s9, s1, s8
	s_cmp_ge_u32 s1, s8
	s_cselect_b32 s6, s7, s6
	s_cselect_b32 s1, s9, s1
	s_add_i32 s7, s6, 1
	s_cmp_ge_u32 s1, s8
	s_cselect_b32 s1, s7, s6
	s_max_u32 s6, s8, 1
	s_add_i32 s1, s1, 1
	s_branch .LBB180_2
	.p2align	6
.LBB180_1:                              ;   in Loop: Header=BB180_2 Depth=1
	s_or_b32 exec_lo, exec_lo, s7
	s_add_i32 s0, s1, s0
	s_delay_alu instid0(VALU_DEP_1)
	v_add_nc_u32_e32 v1, v5, v1
	s_add_i32 s6, s6, -1
	s_and_b32 s0, s0, 0xff
	s_cmp_lg_u32 s6, 0
	s_barrier
	buffer_gl0_inv
	s_cbranch_scc0 .LBB180_4
.LBB180_2:                              ; =>This Inner Loop Header: Depth=1
	s_waitcnt vmcnt(0)
	v_mov_b32_e32 v5, v1
	s_mov_b32 s7, exec_lo
	ds_store_b32 v2, v1 offset:1024
	s_waitcnt lgkmcnt(0)
	s_barrier
	buffer_gl0_inv
	v_cmpx_gt_u32_e64 s0, v3
	s_cbranch_execz .LBB180_1
; %bb.3:                                ;   in Loop: Header=BB180_2 Depth=1
	ds_load_b32 v5, v4 offset:4
	s_waitcnt lgkmcnt(0)
	v_sub_nc_u32_e32 v5, v1, v5
	s_branch .LBB180_1
.LBB180_4:
	v_lshlrev_b32_e32 v0, 2, v0
	s_add_u32 s0, s4, s2
	s_addc_u32 s1, s5, s3
	global_store_b32 v0, v1, s[0:1]
	s_nop 0
	s_sendmsg sendmsg(MSG_DEALLOC_VGPRS)
	s_endpgm
	.section	.rodata,"a",@progbits
	.p2align	6, 0x0
	.amdhsa_kernel _Z6kernelI27subtract_right_partial_tileLj256ELj1ELb0EJPiS1_S1_jEEvDpT3_
		.amdhsa_group_segment_fixed_size 2048
		.amdhsa_private_segment_fixed_size 0
		.amdhsa_kernarg_size 28
		.amdhsa_user_sgpr_count 15
		.amdhsa_user_sgpr_dispatch_ptr 0
		.amdhsa_user_sgpr_queue_ptr 0
		.amdhsa_user_sgpr_kernarg_segment_ptr 1
		.amdhsa_user_sgpr_dispatch_id 0
		.amdhsa_user_sgpr_private_segment_size 0
		.amdhsa_wavefront_size32 1
		.amdhsa_uses_dynamic_stack 0
		.amdhsa_enable_private_segment 0
		.amdhsa_system_sgpr_workgroup_id_x 1
		.amdhsa_system_sgpr_workgroup_id_y 0
		.amdhsa_system_sgpr_workgroup_id_z 0
		.amdhsa_system_sgpr_workgroup_info 0
		.amdhsa_system_vgpr_workitem_id 0
		.amdhsa_next_free_vgpr 6
		.amdhsa_next_free_sgpr 16
		.amdhsa_reserve_vcc 0
		.amdhsa_float_round_mode_32 0
		.amdhsa_float_round_mode_16_64 0
		.amdhsa_float_denorm_mode_32 3
		.amdhsa_float_denorm_mode_16_64 3
		.amdhsa_dx10_clamp 1
		.amdhsa_ieee_mode 1
		.amdhsa_fp16_overflow 0
		.amdhsa_workgroup_processor_mode 1
		.amdhsa_memory_ordered 1
		.amdhsa_forward_progress 0
		.amdhsa_shared_vgpr_count 0
		.amdhsa_exception_fp_ieee_invalid_op 0
		.amdhsa_exception_fp_denorm_src 0
		.amdhsa_exception_fp_ieee_div_zero 0
		.amdhsa_exception_fp_ieee_overflow 0
		.amdhsa_exception_fp_ieee_underflow 0
		.amdhsa_exception_fp_ieee_inexact 0
		.amdhsa_exception_int_div_zero 0
	.end_amdhsa_kernel
	.section	.text._Z6kernelI27subtract_right_partial_tileLj256ELj1ELb0EJPiS1_S1_jEEvDpT3_,"axG",@progbits,_Z6kernelI27subtract_right_partial_tileLj256ELj1ELb0EJPiS1_S1_jEEvDpT3_,comdat
.Lfunc_end180:
	.size	_Z6kernelI27subtract_right_partial_tileLj256ELj1ELb0EJPiS1_S1_jEEvDpT3_, .Lfunc_end180-_Z6kernelI27subtract_right_partial_tileLj256ELj1ELb0EJPiS1_S1_jEEvDpT3_
                                        ; -- End function
	.section	.AMDGPU.csdata,"",@progbits
; Kernel info:
; codeLenInByte = 384
; NumSgprs: 16
; NumVgprs: 6
; ScratchSize: 0
; MemoryBound: 0
; FloatMode: 240
; IeeeMode: 1
; LDSByteSize: 2048 bytes/workgroup (compile time only)
; SGPRBlocks: 1
; VGPRBlocks: 0
; NumSGPRsForWavesPerEU: 16
; NumVGPRsForWavesPerEU: 6
; Occupancy: 16
; WaveLimiterHint : 0
; COMPUTE_PGM_RSRC2:SCRATCH_EN: 0
; COMPUTE_PGM_RSRC2:USER_SGPR: 15
; COMPUTE_PGM_RSRC2:TRAP_HANDLER: 0
; COMPUTE_PGM_RSRC2:TGID_X_EN: 1
; COMPUTE_PGM_RSRC2:TGID_Y_EN: 0
; COMPUTE_PGM_RSRC2:TGID_Z_EN: 0
; COMPUTE_PGM_RSRC2:TIDIG_COMP_CNT: 0
	.section	.text._Z6kernelI27subtract_right_partial_tileLj256ELj3ELb0EJPiS1_S1_jEEvDpT3_,"axG",@progbits,_Z6kernelI27subtract_right_partial_tileLj256ELj3ELb0EJPiS1_S1_jEEvDpT3_,comdat
	.protected	_Z6kernelI27subtract_right_partial_tileLj256ELj3ELb0EJPiS1_S1_jEEvDpT3_ ; -- Begin function _Z6kernelI27subtract_right_partial_tileLj256ELj3ELb0EJPiS1_S1_jEEvDpT3_
	.globl	_Z6kernelI27subtract_right_partial_tileLj256ELj3ELb0EJPiS1_S1_jEEvDpT3_
	.p2align	8
	.type	_Z6kernelI27subtract_right_partial_tileLj256ELj3ELb0EJPiS1_S1_jEEvDpT3_,@function
_Z6kernelI27subtract_right_partial_tileLj256ELj3ELb0EJPiS1_S1_jEEvDpT3_: ; @_Z6kernelI27subtract_right_partial_tileLj256ELj3ELb0EJPiS1_S1_jEEvDpT3_
; %bb.0:
	s_clause 0x1
	s_load_b128 s[8:11], s[0:1], 0x0
	s_load_b64 s[4:5], s[0:1], 0x10
	s_mov_b32 s13, 0
	s_mul_i32 s12, s15, 0x300
	v_lshlrev_b32_e32 v4, 2, v0
	s_lshl_b64 s[2:3], s[12:13], 2
	s_mov_b32 s6, s15
	s_mov_b32 s7, s13
	v_mad_u32_u24 v6, v0, 3, 2
	v_mad_u32_u24 v7, v0, 3, 3
	s_waitcnt lgkmcnt(0)
	s_add_u32 s8, s8, s2
	s_addc_u32 s9, s9, s3
	s_clause 0x2
	global_load_b32 v1, v4, s[8:9]
	global_load_b32 v2, v4, s[8:9] offset:1024
	global_load_b32 v3, v4, s[8:9] offset:2048
	s_load_b32 s8, s[0:1], 0x18
	s_lshl_b64 s[0:1], s[6:7], 2
	s_delay_alu instid0(SALU_CYCLE_1)
	s_add_u32 s0, s10, s0
	s_addc_u32 s1, s11, s1
	s_load_b32 s0, s[0:1], 0x0
	s_waitcnt lgkmcnt(0)
	v_cvt_f32_u32_e32 v5, s8
	s_sub_i32 s7, 0, s8
	s_delay_alu instid0(VALU_DEP_1) | instskip(SKIP_3) | instid1(VALU_DEP_2)
	v_rcp_iflag_f32_e32 v5, v5
	s_waitcnt_depctr 0xfff
	v_mul_f32_e32 v5, 0x4f7ffffe, v5
	v_or_b32_e32 v8, 0x400, v4
	v_cvt_u32_f32_e32 v5, v5
	s_delay_alu instid0(VALU_DEP_1) | instskip(SKIP_1) | instid1(VALU_DEP_2)
	v_readfirstlane_b32 s6, v5
	v_mad_u32_u24 v5, v0, 3, 1
	s_mul_i32 s7, s7, s6
	s_delay_alu instid0(SALU_CYCLE_1) | instskip(NEXT) | instid1(SALU_CYCLE_1)
	s_mul_hi_u32 s7, s6, s7
	s_add_i32 s6, s6, s7
	s_delay_alu instid0(SALU_CYCLE_1) | instskip(NEXT) | instid1(SALU_CYCLE_1)
	s_mul_hi_u32 s6, s6, 0x300
	s_mul_i32 s7, s6, s8
	s_delay_alu instid0(SALU_CYCLE_1)
	s_sub_i32 s1, 0x300, s7
	s_add_i32 s7, s6, 1
	s_sub_i32 s9, s1, s8
	s_cmp_ge_u32 s1, s8
	s_cselect_b32 s6, s7, s6
	s_cselect_b32 s1, s9, s1
	s_add_i32 s7, s6, 1
	s_cmp_ge_u32 s1, s8
	s_cselect_b32 s1, s7, s6
	s_max_u32 s6, s8, 1
	s_add_i32 s1, s1, 1
	s_set_inst_prefetch_distance 0x1
	s_branch .LBB181_2
	.p2align	6
.LBB181_1:                              ;   in Loop: Header=BB181_2 Depth=1
	s_or_b32 exec_lo, exec_lo, s7
	s_add_i32 s0, s1, s0
	v_add_nc_u32_e32 v1, v9, v1
	s_mul_hi_u32 s7, s0, 0xaaaaaaab
	v_add_nc_u32_e32 v2, v10, v2
	s_lshr_b32 s7, s7, 9
	v_add_nc_u32_e32 v3, v11, v3
	s_mulk_i32 s7, 0x300
	s_add_i32 s6, s6, -1
	s_sub_i32 s0, s0, s7
	s_cmp_lg_u32 s6, 0
	s_barrier
	buffer_gl0_inv
	s_cbranch_scc0 .LBB181_4
.LBB181_2:                              ; =>This Inner Loop Header: Depth=1
	s_waitcnt vmcnt(1)
	v_sub_nc_u32_e32 v9, v1, v2
	v_cmp_gt_u32_e32 vcc_lo, s0, v5
	s_waitcnt vmcnt(0)
	v_sub_nc_u32_e32 v10, v2, v3
	v_mov_b32_e32 v11, v3
	s_mov_b32 s7, exec_lo
	ds_store_b32 v4, v1 offset:1024
	v_cndmask_b32_e32 v9, v1, v9, vcc_lo
	v_cmp_gt_u32_e32 vcc_lo, s0, v6
	s_waitcnt lgkmcnt(0)
	s_barrier
	buffer_gl0_inv
	v_cndmask_b32_e32 v10, v2, v10, vcc_lo
	v_cmpx_gt_u32_e64 s0, v7
	s_cbranch_execz .LBB181_1
; %bb.3:                                ;   in Loop: Header=BB181_2 Depth=1
	ds_load_b32 v11, v8 offset:4
	s_waitcnt lgkmcnt(0)
	v_sub_nc_u32_e32 v11, v3, v11
	s_branch .LBB181_1
.LBB181_4:
	s_set_inst_prefetch_distance 0x2
	v_lshlrev_b32_e32 v0, 2, v0
	s_add_u32 s0, s4, s2
	s_addc_u32 s1, s5, s3
	s_clause 0x2
	global_store_b32 v0, v1, s[0:1]
	global_store_b32 v0, v2, s[0:1] offset:1024
	global_store_b32 v0, v3, s[0:1] offset:2048
	s_nop 0
	s_sendmsg sendmsg(MSG_DEALLOC_VGPRS)
	s_endpgm
	.section	.rodata,"a",@progbits
	.p2align	6, 0x0
	.amdhsa_kernel _Z6kernelI27subtract_right_partial_tileLj256ELj3ELb0EJPiS1_S1_jEEvDpT3_
		.amdhsa_group_segment_fixed_size 2048
		.amdhsa_private_segment_fixed_size 0
		.amdhsa_kernarg_size 28
		.amdhsa_user_sgpr_count 15
		.amdhsa_user_sgpr_dispatch_ptr 0
		.amdhsa_user_sgpr_queue_ptr 0
		.amdhsa_user_sgpr_kernarg_segment_ptr 1
		.amdhsa_user_sgpr_dispatch_id 0
		.amdhsa_user_sgpr_private_segment_size 0
		.amdhsa_wavefront_size32 1
		.amdhsa_uses_dynamic_stack 0
		.amdhsa_enable_private_segment 0
		.amdhsa_system_sgpr_workgroup_id_x 1
		.amdhsa_system_sgpr_workgroup_id_y 0
		.amdhsa_system_sgpr_workgroup_id_z 0
		.amdhsa_system_sgpr_workgroup_info 0
		.amdhsa_system_vgpr_workitem_id 0
		.amdhsa_next_free_vgpr 12
		.amdhsa_next_free_sgpr 16
		.amdhsa_reserve_vcc 1
		.amdhsa_float_round_mode_32 0
		.amdhsa_float_round_mode_16_64 0
		.amdhsa_float_denorm_mode_32 3
		.amdhsa_float_denorm_mode_16_64 3
		.amdhsa_dx10_clamp 1
		.amdhsa_ieee_mode 1
		.amdhsa_fp16_overflow 0
		.amdhsa_workgroup_processor_mode 1
		.amdhsa_memory_ordered 1
		.amdhsa_forward_progress 0
		.amdhsa_shared_vgpr_count 0
		.amdhsa_exception_fp_ieee_invalid_op 0
		.amdhsa_exception_fp_denorm_src 0
		.amdhsa_exception_fp_ieee_div_zero 0
		.amdhsa_exception_fp_ieee_overflow 0
		.amdhsa_exception_fp_ieee_underflow 0
		.amdhsa_exception_fp_ieee_inexact 0
		.amdhsa_exception_int_div_zero 0
	.end_amdhsa_kernel
	.section	.text._Z6kernelI27subtract_right_partial_tileLj256ELj3ELb0EJPiS1_S1_jEEvDpT3_,"axG",@progbits,_Z6kernelI27subtract_right_partial_tileLj256ELj3ELb0EJPiS1_S1_jEEvDpT3_,comdat
.Lfunc_end181:
	.size	_Z6kernelI27subtract_right_partial_tileLj256ELj3ELb0EJPiS1_S1_jEEvDpT3_, .Lfunc_end181-_Z6kernelI27subtract_right_partial_tileLj256ELj3ELb0EJPiS1_S1_jEEvDpT3_
                                        ; -- End function
	.section	.AMDGPU.csdata,"",@progbits
; Kernel info:
; codeLenInByte = 504
; NumSgprs: 18
; NumVgprs: 12
; ScratchSize: 0
; MemoryBound: 0
; FloatMode: 240
; IeeeMode: 1
; LDSByteSize: 2048 bytes/workgroup (compile time only)
; SGPRBlocks: 2
; VGPRBlocks: 1
; NumSGPRsForWavesPerEU: 18
; NumVGPRsForWavesPerEU: 12
; Occupancy: 16
; WaveLimiterHint : 1
; COMPUTE_PGM_RSRC2:SCRATCH_EN: 0
; COMPUTE_PGM_RSRC2:USER_SGPR: 15
; COMPUTE_PGM_RSRC2:TRAP_HANDLER: 0
; COMPUTE_PGM_RSRC2:TGID_X_EN: 1
; COMPUTE_PGM_RSRC2:TGID_Y_EN: 0
; COMPUTE_PGM_RSRC2:TGID_Z_EN: 0
; COMPUTE_PGM_RSRC2:TIDIG_COMP_CNT: 0
	.section	.text._Z6kernelI27subtract_right_partial_tileLj256ELj4ELb0EJPiS1_S1_jEEvDpT3_,"axG",@progbits,_Z6kernelI27subtract_right_partial_tileLj256ELj4ELb0EJPiS1_S1_jEEvDpT3_,comdat
	.protected	_Z6kernelI27subtract_right_partial_tileLj256ELj4ELb0EJPiS1_S1_jEEvDpT3_ ; -- Begin function _Z6kernelI27subtract_right_partial_tileLj256ELj4ELb0EJPiS1_S1_jEEvDpT3_
	.globl	_Z6kernelI27subtract_right_partial_tileLj256ELj4ELb0EJPiS1_S1_jEEvDpT3_
	.p2align	8
	.type	_Z6kernelI27subtract_right_partial_tileLj256ELj4ELb0EJPiS1_S1_jEEvDpT3_,@function
_Z6kernelI27subtract_right_partial_tileLj256ELj4ELb0EJPiS1_S1_jEEvDpT3_: ; @_Z6kernelI27subtract_right_partial_tileLj256ELj4ELb0EJPiS1_S1_jEEvDpT3_
; %bb.0:
	s_clause 0x1
	s_load_b128 s[8:11], s[0:1], 0x0
	s_load_b64 s[4:5], s[0:1], 0x10
	s_mov_b32 s13, 0
	s_lshl_b32 s12, s15, 10
	v_lshlrev_b32_e32 v5, 2, v0
	s_lshl_b64 s[2:3], s[12:13], 2
	s_mov_b32 s6, s15
	s_mov_b32 s7, s13
	s_waitcnt lgkmcnt(0)
	s_add_u32 s8, s8, s2
	s_addc_u32 s9, s9, s3
	s_clause 0x3
	global_load_b32 v1, v5, s[8:9]
	global_load_b32 v2, v5, s[8:9] offset:1024
	global_load_b32 v3, v5, s[8:9] offset:2048
	;; [unrolled: 1-line block ×3, first 2 shown]
	s_load_b32 s8, s[0:1], 0x18
	s_lshl_b64 s[0:1], s[6:7], 2
	s_delay_alu instid0(SALU_CYCLE_1)
	s_add_u32 s0, s10, s0
	s_addc_u32 s1, s11, s1
	s_load_b32 s0, s[0:1], 0x0
	s_waitcnt lgkmcnt(0)
	v_cvt_f32_u32_e32 v6, s8
	s_sub_i32 s7, 0, s8
	s_delay_alu instid0(VALU_DEP_1)
	v_rcp_iflag_f32_e32 v6, v6
	s_waitcnt_depctr 0xfff
	v_mul_f32_e32 v6, 0x4f7ffffe, v6
	v_or_b32_e32 v7, 2, v5
	v_or_b32_e32 v8, 3, v5
	v_add_nc_u32_e32 v9, 4, v5
	v_or_b32_e32 v10, 0x400, v5
	v_cvt_u32_f32_e32 v6, v6
	s_delay_alu instid0(VALU_DEP_1) | instskip(SKIP_1) | instid1(VALU_DEP_2)
	v_readfirstlane_b32 s6, v6
	v_or_b32_e32 v6, 1, v5
	s_mul_i32 s7, s7, s6
	s_delay_alu instid0(SALU_CYCLE_1) | instskip(NEXT) | instid1(SALU_CYCLE_1)
	s_mul_hi_u32 s7, s6, s7
	s_add_i32 s6, s6, s7
	s_delay_alu instid0(SALU_CYCLE_1) | instskip(NEXT) | instid1(SALU_CYCLE_1)
	s_lshr_b32 s6, s6, 22
	s_mul_i32 s7, s6, s8
	s_delay_alu instid0(SALU_CYCLE_1)
	s_sub_i32 s1, 0x400, s7
	s_add_i32 s7, s6, 1
	s_sub_i32 s9, s1, s8
	s_cmp_ge_u32 s1, s8
	s_cselect_b32 s6, s7, s6
	s_cselect_b32 s1, s9, s1
	s_add_i32 s7, s6, 1
	s_cmp_ge_u32 s1, s8
	s_cselect_b32 s1, s7, s6
	s_max_u32 s6, s8, 1
	s_add_i32 s1, s1, 1
	s_set_inst_prefetch_distance 0x1
	s_branch .LBB182_2
	.p2align	6
.LBB182_1:                              ;   in Loop: Header=BB182_2 Depth=1
	s_or_b32 exec_lo, exec_lo, s7
	v_add_nc_u32_e32 v1, v11, v1
	v_add_nc_u32_e32 v2, v12, v2
	;; [unrolled: 1-line block ×3, first 2 shown]
	s_add_i32 s0, s1, s0
	v_add_nc_u32_e32 v4, v14, v4
	s_add_i32 s6, s6, -1
	s_and_b32 s0, s0, 0x3ff
	s_cmp_lg_u32 s6, 0
	s_barrier
	buffer_gl0_inv
	s_cbranch_scc0 .LBB182_4
.LBB182_2:                              ; =>This Inner Loop Header: Depth=1
	s_waitcnt vmcnt(2)
	v_sub_nc_u32_e32 v11, v1, v2
	v_cmp_gt_u32_e32 vcc_lo, s0, v6
	s_waitcnt vmcnt(1)
	v_sub_nc_u32_e32 v12, v2, v3
	s_waitcnt vmcnt(0)
	v_sub_nc_u32_e32 v13, v3, v4
	s_mov_b32 s7, exec_lo
	ds_store_b32 v5, v1 offset:1024
	v_cndmask_b32_e32 v11, v1, v11, vcc_lo
	v_cmp_gt_u32_e32 vcc_lo, s0, v7
	s_waitcnt lgkmcnt(0)
	s_barrier
	buffer_gl0_inv
	v_mov_b32_e32 v14, v4
	v_cndmask_b32_e32 v12, v2, v12, vcc_lo
	v_cmp_gt_u32_e32 vcc_lo, s0, v8
	v_cndmask_b32_e32 v13, v3, v13, vcc_lo
	v_cmpx_gt_u32_e64 s0, v9
	s_cbranch_execz .LBB182_1
; %bb.3:                                ;   in Loop: Header=BB182_2 Depth=1
	ds_load_b32 v14, v10 offset:4
	s_waitcnt lgkmcnt(0)
	v_sub_nc_u32_e32 v14, v4, v14
	s_branch .LBB182_1
.LBB182_4:
	s_set_inst_prefetch_distance 0x2
	v_lshlrev_b32_e32 v0, 2, v0
	s_add_u32 s0, s4, s2
	s_addc_u32 s1, s5, s3
	s_clause 0x3
	global_store_b32 v0, v1, s[0:1]
	global_store_b32 v0, v2, s[0:1] offset:1024
	global_store_b32 v0, v3, s[0:1] offset:2048
	;; [unrolled: 1-line block ×3, first 2 shown]
	s_nop 0
	s_sendmsg sendmsg(MSG_DEALLOC_VGPRS)
	s_endpgm
	.section	.rodata,"a",@progbits
	.p2align	6, 0x0
	.amdhsa_kernel _Z6kernelI27subtract_right_partial_tileLj256ELj4ELb0EJPiS1_S1_jEEvDpT3_
		.amdhsa_group_segment_fixed_size 2048
		.amdhsa_private_segment_fixed_size 0
		.amdhsa_kernarg_size 28
		.amdhsa_user_sgpr_count 15
		.amdhsa_user_sgpr_dispatch_ptr 0
		.amdhsa_user_sgpr_queue_ptr 0
		.amdhsa_user_sgpr_kernarg_segment_ptr 1
		.amdhsa_user_sgpr_dispatch_id 0
		.amdhsa_user_sgpr_private_segment_size 0
		.amdhsa_wavefront_size32 1
		.amdhsa_uses_dynamic_stack 0
		.amdhsa_enable_private_segment 0
		.amdhsa_system_sgpr_workgroup_id_x 1
		.amdhsa_system_sgpr_workgroup_id_y 0
		.amdhsa_system_sgpr_workgroup_id_z 0
		.amdhsa_system_sgpr_workgroup_info 0
		.amdhsa_system_vgpr_workitem_id 0
		.amdhsa_next_free_vgpr 15
		.amdhsa_next_free_sgpr 16
		.amdhsa_reserve_vcc 1
		.amdhsa_float_round_mode_32 0
		.amdhsa_float_round_mode_16_64 0
		.amdhsa_float_denorm_mode_32 3
		.amdhsa_float_denorm_mode_16_64 3
		.amdhsa_dx10_clamp 1
		.amdhsa_ieee_mode 1
		.amdhsa_fp16_overflow 0
		.amdhsa_workgroup_processor_mode 1
		.amdhsa_memory_ordered 1
		.amdhsa_forward_progress 0
		.amdhsa_shared_vgpr_count 0
		.amdhsa_exception_fp_ieee_invalid_op 0
		.amdhsa_exception_fp_denorm_src 0
		.amdhsa_exception_fp_ieee_div_zero 0
		.amdhsa_exception_fp_ieee_overflow 0
		.amdhsa_exception_fp_ieee_underflow 0
		.amdhsa_exception_fp_ieee_inexact 0
		.amdhsa_exception_int_div_zero 0
	.end_amdhsa_kernel
	.section	.text._Z6kernelI27subtract_right_partial_tileLj256ELj4ELb0EJPiS1_S1_jEEvDpT3_,"axG",@progbits,_Z6kernelI27subtract_right_partial_tileLj256ELj4ELb0EJPiS1_S1_jEEvDpT3_,comdat
.Lfunc_end182:
	.size	_Z6kernelI27subtract_right_partial_tileLj256ELj4ELb0EJPiS1_S1_jEEvDpT3_, .Lfunc_end182-_Z6kernelI27subtract_right_partial_tileLj256ELj4ELb0EJPiS1_S1_jEEvDpT3_
                                        ; -- End function
	.section	.AMDGPU.csdata,"",@progbits
; Kernel info:
; codeLenInByte = 512
; NumSgprs: 18
; NumVgprs: 15
; ScratchSize: 0
; MemoryBound: 0
; FloatMode: 240
; IeeeMode: 1
; LDSByteSize: 2048 bytes/workgroup (compile time only)
; SGPRBlocks: 2
; VGPRBlocks: 1
; NumSGPRsForWavesPerEU: 18
; NumVGPRsForWavesPerEU: 15
; Occupancy: 16
; WaveLimiterHint : 1
; COMPUTE_PGM_RSRC2:SCRATCH_EN: 0
; COMPUTE_PGM_RSRC2:USER_SGPR: 15
; COMPUTE_PGM_RSRC2:TRAP_HANDLER: 0
; COMPUTE_PGM_RSRC2:TGID_X_EN: 1
; COMPUTE_PGM_RSRC2:TGID_Y_EN: 0
; COMPUTE_PGM_RSRC2:TGID_Z_EN: 0
; COMPUTE_PGM_RSRC2:TIDIG_COMP_CNT: 0
	.section	.text._Z6kernelI27subtract_right_partial_tileLj256ELj8ELb0EJPiS1_S1_jEEvDpT3_,"axG",@progbits,_Z6kernelI27subtract_right_partial_tileLj256ELj8ELb0EJPiS1_S1_jEEvDpT3_,comdat
	.protected	_Z6kernelI27subtract_right_partial_tileLj256ELj8ELb0EJPiS1_S1_jEEvDpT3_ ; -- Begin function _Z6kernelI27subtract_right_partial_tileLj256ELj8ELb0EJPiS1_S1_jEEvDpT3_
	.globl	_Z6kernelI27subtract_right_partial_tileLj256ELj8ELb0EJPiS1_S1_jEEvDpT3_
	.p2align	8
	.type	_Z6kernelI27subtract_right_partial_tileLj256ELj8ELb0EJPiS1_S1_jEEvDpT3_,@function
_Z6kernelI27subtract_right_partial_tileLj256ELj8ELb0EJPiS1_S1_jEEvDpT3_: ; @_Z6kernelI27subtract_right_partial_tileLj256ELj8ELb0EJPiS1_S1_jEEvDpT3_
; %bb.0:
	s_clause 0x1
	s_load_b128 s[4:7], s[0:1], 0x0
	s_load_b64 s[8:9], s[0:1], 0x10
	s_mov_b32 s13, 0
	s_lshl_b32 s12, s15, 11
	v_lshlrev_b32_e32 v9, 2, v0
	s_lshl_b64 s[2:3], s[12:13], 2
	s_mov_b32 s10, s15
	v_lshlrev_b32_e32 v17, 3, v0
	s_delay_alu instid0(VALU_DEP_1)
	v_or_b32_e32 v12, 3, v17
	v_or_b32_e32 v13, 4, v17
	;; [unrolled: 1-line block ×5, first 2 shown]
	s_waitcnt lgkmcnt(0)
	s_add_u32 s4, s4, s2
	s_addc_u32 s5, s5, s3
	v_add_co_u32 v1, s11, s4, v9
	s_delay_alu instid0(VALU_DEP_1) | instskip(SKIP_1) | instid1(VALU_DEP_2)
	v_add_co_ci_u32_e64 v2, null, s5, 0, s11
	s_mov_b32 s11, s13
	v_add_co_u32 v10, vcc_lo, 0x1000, v1
	s_delay_alu instid0(VALU_DEP_2)
	v_add_co_ci_u32_e32 v11, vcc_lo, 0, v2, vcc_lo
	s_clause 0x7
	global_load_b32 v1, v9, s[4:5]
	global_load_b32 v2, v9, s[4:5] offset:1024
	global_load_b32 v3, v9, s[4:5] offset:2048
	;; [unrolled: 1-line block ×3, first 2 shown]
	global_load_b32 v5, v[10:11], off
	global_load_b32 v6, v[10:11], off offset:1024
	global_load_b32 v7, v[10:11], off offset:2048
	;; [unrolled: 1-line block ×3, first 2 shown]
	s_load_b32 s4, s[0:1], 0x18
	s_lshl_b64 s[0:1], s[10:11], 2
	v_or_b32_e32 v11, 2, v17
	s_add_u32 s0, s6, s0
	s_addc_u32 s1, s7, s1
	s_load_b32 s0, s[0:1], 0x0
	s_waitcnt lgkmcnt(0)
	v_cvt_f32_u32_e32 v10, s4
	s_sub_i32 s6, 0, s4
	s_delay_alu instid0(VALU_DEP_1) | instskip(SKIP_3) | instid1(VALU_DEP_2)
	v_rcp_iflag_f32_e32 v10, v10
	s_waitcnt_depctr 0xfff
	v_mul_f32_e32 v10, 0x4f7ffffe, v10
	v_or_b32_e32 v18, 0x400, v9
	v_cvt_u32_f32_e32 v10, v10
	s_delay_alu instid0(VALU_DEP_1) | instskip(SKIP_2) | instid1(VALU_DEP_3)
	v_readfirstlane_b32 s5, v10
	v_or_b32_e32 v10, 1, v17
	v_add_nc_u32_e32 v17, 8, v17
	s_mul_i32 s6, s6, s5
	s_delay_alu instid0(SALU_CYCLE_1) | instskip(NEXT) | instid1(SALU_CYCLE_1)
	s_mul_hi_u32 s6, s5, s6
	s_add_i32 s5, s5, s6
	s_delay_alu instid0(SALU_CYCLE_1) | instskip(NEXT) | instid1(SALU_CYCLE_1)
	s_lshr_b32 s5, s5, 21
	s_mul_i32 s6, s5, s4
	s_add_i32 s7, s5, 1
	s_sub_i32 s6, 0x800, s6
	s_delay_alu instid0(SALU_CYCLE_1)
	s_sub_i32 s10, s6, s4
	s_cmp_ge_u32 s6, s4
	s_cselect_b32 s1, s7, s5
	s_cselect_b32 s5, s10, s6
	s_add_i32 s6, s1, 1
	s_cmp_ge_u32 s5, s4
	s_cselect_b32 s1, s6, s1
	s_max_u32 s4, s4, 1
	s_add_i32 s1, s1, 1
	s_branch .LBB183_2
.LBB183_1:                              ;   in Loop: Header=BB183_2 Depth=1
	s_or_b32 exec_lo, exec_lo, s5
	v_cmp_gt_u32_e32 vcc_lo, s0, v10
	s_add_i32 s4, s4, -1
	s_barrier
	buffer_gl0_inv
	v_cndmask_b32_e32 v20, 0, v2, vcc_lo
	v_cmp_gt_u32_e32 vcc_lo, s0, v11
	v_cndmask_b32_e32 v21, 0, v3, vcc_lo
	v_cmp_gt_u32_e32 vcc_lo, s0, v12
	s_delay_alu instid0(VALU_DEP_4) | instskip(NEXT) | instid1(VALU_DEP_3)
	v_sub_nc_u32_e32 v20, v1, v20
	v_sub_nc_u32_e32 v21, v2, v21
	v_cndmask_b32_e32 v22, 0, v4, vcc_lo
	v_cmp_gt_u32_e32 vcc_lo, s0, v13
	s_delay_alu instid0(VALU_DEP_4) | instskip(NEXT) | instid1(VALU_DEP_4)
	v_add_nc_u32_e32 v1, v20, v1
	v_dual_cndmask_b32 v23, 0, v5 :: v_dual_add_nc_u32 v2, v21, v2
	v_cmp_gt_u32_e32 vcc_lo, s0, v14
	v_sub_nc_u32_e32 v22, v3, v22
	s_delay_alu instid0(VALU_DEP_3) | instskip(SKIP_2) | instid1(VALU_DEP_4)
	v_sub_nc_u32_e32 v23, v4, v23
	v_cndmask_b32_e32 v24, 0, v6, vcc_lo
	v_cmp_gt_u32_e32 vcc_lo, s0, v15
	v_add_nc_u32_e32 v3, v22, v3
	s_delay_alu instid0(VALU_DEP_4) | instskip(SKIP_3) | instid1(VALU_DEP_3)
	v_dual_cndmask_b32 v25, 0, v7 :: v_dual_add_nc_u32 v4, v23, v4
	v_cmp_gt_u32_e32 vcc_lo, s0, v16
	v_sub_nc_u32_e32 v24, v5, v24
	s_add_i32 s0, s1, s0
	v_sub_nc_u32_e32 v25, v6, v25
	s_delay_alu instid0(VALU_DEP_2) | instskip(SKIP_2) | instid1(VALU_DEP_3)
	v_dual_cndmask_b32 v26, 0, v8 :: v_dual_add_nc_u32 v5, v24, v5
	v_add_nc_u32_e32 v8, v19, v8
	s_and_b32 s0, s0, 0x7ff
	v_add_nc_u32_e32 v6, v25, v6
	s_delay_alu instid0(VALU_DEP_3) | instskip(SKIP_1) | instid1(VALU_DEP_1)
	v_sub_nc_u32_e32 v26, v7, v26
	s_cmp_lg_u32 s4, 0
	v_add_nc_u32_e32 v7, v26, v7
	s_cbranch_scc0 .LBB183_4
.LBB183_2:                              ; =>This Inner Loop Header: Depth=1
	s_waitcnt vmcnt(0)
	v_mov_b32_e32 v19, v8
	s_mov_b32 s5, exec_lo
	ds_store_b32 v9, v1 offset:1024
	s_waitcnt lgkmcnt(0)
	s_barrier
	buffer_gl0_inv
	v_cmpx_gt_u32_e64 s0, v17
	s_cbranch_execz .LBB183_1
; %bb.3:                                ;   in Loop: Header=BB183_2 Depth=1
	ds_load_b32 v19, v18 offset:4
	s_waitcnt lgkmcnt(0)
	v_sub_nc_u32_e32 v19, v8, v19
	s_branch .LBB183_1
.LBB183_4:
	v_lshlrev_b32_e32 v0, 2, v0
	s_add_u32 s0, s8, s2
	s_addc_u32 s1, s9, s3
	s_delay_alu instid0(VALU_DEP_1) | instskip(NEXT) | instid1(VALU_DEP_1)
	v_add_co_u32 v9, s2, s0, v0
	v_add_co_ci_u32_e64 v10, null, s1, 0, s2
	s_delay_alu instid0(VALU_DEP_2) | instskip(NEXT) | instid1(VALU_DEP_2)
	v_add_co_u32 v9, vcc_lo, 0x1000, v9
	v_add_co_ci_u32_e32 v10, vcc_lo, 0, v10, vcc_lo
	s_clause 0x7
	global_store_b32 v0, v1, s[0:1]
	global_store_b32 v0, v2, s[0:1] offset:1024
	global_store_b32 v0, v3, s[0:1] offset:2048
	;; [unrolled: 1-line block ×3, first 2 shown]
	global_store_b32 v[9:10], v5, off
	global_store_b32 v[9:10], v6, off offset:1024
	global_store_b32 v[9:10], v7, off offset:2048
	;; [unrolled: 1-line block ×3, first 2 shown]
	s_nop 0
	s_sendmsg sendmsg(MSG_DEALLOC_VGPRS)
	s_endpgm
	.section	.rodata,"a",@progbits
	.p2align	6, 0x0
	.amdhsa_kernel _Z6kernelI27subtract_right_partial_tileLj256ELj8ELb0EJPiS1_S1_jEEvDpT3_
		.amdhsa_group_segment_fixed_size 2048
		.amdhsa_private_segment_fixed_size 0
		.amdhsa_kernarg_size 28
		.amdhsa_user_sgpr_count 15
		.amdhsa_user_sgpr_dispatch_ptr 0
		.amdhsa_user_sgpr_queue_ptr 0
		.amdhsa_user_sgpr_kernarg_segment_ptr 1
		.amdhsa_user_sgpr_dispatch_id 0
		.amdhsa_user_sgpr_private_segment_size 0
		.amdhsa_wavefront_size32 1
		.amdhsa_uses_dynamic_stack 0
		.amdhsa_enable_private_segment 0
		.amdhsa_system_sgpr_workgroup_id_x 1
		.amdhsa_system_sgpr_workgroup_id_y 0
		.amdhsa_system_sgpr_workgroup_id_z 0
		.amdhsa_system_sgpr_workgroup_info 0
		.amdhsa_system_vgpr_workitem_id 0
		.amdhsa_next_free_vgpr 27
		.amdhsa_next_free_sgpr 16
		.amdhsa_reserve_vcc 1
		.amdhsa_float_round_mode_32 0
		.amdhsa_float_round_mode_16_64 0
		.amdhsa_float_denorm_mode_32 3
		.amdhsa_float_denorm_mode_16_64 3
		.amdhsa_dx10_clamp 1
		.amdhsa_ieee_mode 1
		.amdhsa_fp16_overflow 0
		.amdhsa_workgroup_processor_mode 1
		.amdhsa_memory_ordered 1
		.amdhsa_forward_progress 0
		.amdhsa_shared_vgpr_count 0
		.amdhsa_exception_fp_ieee_invalid_op 0
		.amdhsa_exception_fp_denorm_src 0
		.amdhsa_exception_fp_ieee_div_zero 0
		.amdhsa_exception_fp_ieee_overflow 0
		.amdhsa_exception_fp_ieee_underflow 0
		.amdhsa_exception_fp_ieee_inexact 0
		.amdhsa_exception_int_div_zero 0
	.end_amdhsa_kernel
	.section	.text._Z6kernelI27subtract_right_partial_tileLj256ELj8ELb0EJPiS1_S1_jEEvDpT3_,"axG",@progbits,_Z6kernelI27subtract_right_partial_tileLj256ELj8ELb0EJPiS1_S1_jEEvDpT3_,comdat
.Lfunc_end183:
	.size	_Z6kernelI27subtract_right_partial_tileLj256ELj8ELb0EJPiS1_S1_jEEvDpT3_, .Lfunc_end183-_Z6kernelI27subtract_right_partial_tileLj256ELj8ELb0EJPiS1_S1_jEEvDpT3_
                                        ; -- End function
	.section	.AMDGPU.csdata,"",@progbits
; Kernel info:
; codeLenInByte = 748
; NumSgprs: 18
; NumVgprs: 27
; ScratchSize: 0
; MemoryBound: 0
; FloatMode: 240
; IeeeMode: 1
; LDSByteSize: 2048 bytes/workgroup (compile time only)
; SGPRBlocks: 2
; VGPRBlocks: 3
; NumSGPRsForWavesPerEU: 18
; NumVGPRsForWavesPerEU: 27
; Occupancy: 16
; WaveLimiterHint : 1
; COMPUTE_PGM_RSRC2:SCRATCH_EN: 0
; COMPUTE_PGM_RSRC2:USER_SGPR: 15
; COMPUTE_PGM_RSRC2:TRAP_HANDLER: 0
; COMPUTE_PGM_RSRC2:TGID_X_EN: 1
; COMPUTE_PGM_RSRC2:TGID_Y_EN: 0
; COMPUTE_PGM_RSRC2:TGID_Z_EN: 0
; COMPUTE_PGM_RSRC2:TIDIG_COMP_CNT: 0
	.section	.text._Z6kernelI27subtract_right_partial_tileLj256ELj16ELb0EJPiS1_S1_jEEvDpT3_,"axG",@progbits,_Z6kernelI27subtract_right_partial_tileLj256ELj16ELb0EJPiS1_S1_jEEvDpT3_,comdat
	.protected	_Z6kernelI27subtract_right_partial_tileLj256ELj16ELb0EJPiS1_S1_jEEvDpT3_ ; -- Begin function _Z6kernelI27subtract_right_partial_tileLj256ELj16ELb0EJPiS1_S1_jEEvDpT3_
	.globl	_Z6kernelI27subtract_right_partial_tileLj256ELj16ELb0EJPiS1_S1_jEEvDpT3_
	.p2align	8
	.type	_Z6kernelI27subtract_right_partial_tileLj256ELj16ELb0EJPiS1_S1_jEEvDpT3_,@function
_Z6kernelI27subtract_right_partial_tileLj256ELj16ELb0EJPiS1_S1_jEEvDpT3_: ; @_Z6kernelI27subtract_right_partial_tileLj256ELj16ELb0EJPiS1_S1_jEEvDpT3_
; %bb.0:
	s_clause 0x1
	s_load_b128 s[4:7], s[0:1], 0x0
	s_load_b64 s[8:9], s[0:1], 0x10
	s_mov_b32 s13, 0
	s_lshl_b32 s12, s15, 12
	v_lshlrev_b32_e32 v17, 2, v0
	s_lshl_b64 s[2:3], s[12:13], 2
	s_mov_b32 s10, s15
	v_lshlrev_b32_e32 v33, 4, v0
	s_delay_alu instid0(VALU_DEP_1)
	v_or_b32_e32 v22, 5, v33
	v_or_b32_e32 v23, 6, v33
	;; [unrolled: 1-line block ×8, first 2 shown]
	s_waitcnt lgkmcnt(0)
	s_add_u32 s4, s4, s2
	s_addc_u32 s5, s5, s3
	v_add_co_u32 v10, s11, s4, v17
	s_delay_alu instid0(VALU_DEP_1)
	v_add_co_ci_u32_e64 v11, null, s5, 0, s11
	s_clause 0x3
	global_load_b32 v4, v17, s[4:5]
	global_load_b32 v3, v17, s[4:5] offset:1024
	global_load_b32 v2, v17, s[4:5] offset:2048
	;; [unrolled: 1-line block ×3, first 2 shown]
	v_add_co_u32 v6, vcc_lo, 0x1000, v10
	v_add_co_ci_u32_e32 v7, vcc_lo, 0, v11, vcc_lo
	v_add_co_u32 v8, vcc_lo, v10, 0x2000
	v_add_co_ci_u32_e32 v9, vcc_lo, 0, v11, vcc_lo
	;; [unrolled: 2-line block ×3, first 2 shown]
	v_add_co_u32 v20, vcc_lo, 0x3000, v10
	s_clause 0x1
	global_load_b32 v5, v[8:9], off offset:-4096
	global_load_b32 v16, v[8:9], off
	v_add_co_ci_u32_e32 v21, vcc_lo, 0, v11, vcc_lo
	s_clause 0x9
	global_load_b32 v15, v[6:7], off offset:1024
	global_load_b32 v14, v[6:7], off offset:2048
	;; [unrolled: 1-line block ×6, first 2 shown]
	global_load_b32 v9, v[20:21], off
	global_load_b32 v8, v[20:21], off offset:1024
	global_load_b32 v7, v[20:21], off offset:2048
	;; [unrolled: 1-line block ×3, first 2 shown]
	s_load_b32 s4, s[0:1], 0x18
	s_mov_b32 s11, s13
	v_or_b32_e32 v19, 2, v33
	s_lshl_b64 s[0:1], s[10:11], 2
	v_or_b32_e32 v20, 3, v33
	s_add_u32 s0, s6, s0
	s_addc_u32 s1, s7, s1
	v_or_b32_e32 v21, 4, v33
	s_load_b32 s0, s[0:1], 0x0
	v_or_b32_e32 v30, 13, v33
	v_or_b32_e32 v31, 14, v33
	;; [unrolled: 1-line block ×3, first 2 shown]
	s_waitcnt lgkmcnt(0)
	v_cvt_f32_u32_e32 v18, s4
	s_sub_i32 s6, 0, s4
	s_delay_alu instid0(VALU_DEP_1) | instskip(SKIP_3) | instid1(VALU_DEP_2)
	v_rcp_iflag_f32_e32 v18, v18
	s_waitcnt_depctr 0xfff
	v_mul_f32_e32 v18, 0x4f7ffffe, v18
	v_or_b32_e32 v34, 0x400, v17
	v_cvt_u32_f32_e32 v18, v18
	s_delay_alu instid0(VALU_DEP_1) | instskip(SKIP_2) | instid1(VALU_DEP_3)
	v_readfirstlane_b32 s5, v18
	v_or_b32_e32 v18, 1, v33
	v_add_nc_u32_e32 v33, 16, v33
	s_mul_i32 s6, s6, s5
	s_delay_alu instid0(SALU_CYCLE_1) | instskip(NEXT) | instid1(SALU_CYCLE_1)
	s_mul_hi_u32 s6, s5, s6
	s_add_i32 s5, s5, s6
	s_delay_alu instid0(SALU_CYCLE_1) | instskip(NEXT) | instid1(SALU_CYCLE_1)
	s_lshr_b32 s5, s5, 20
	s_mul_i32 s6, s5, s4
	s_add_i32 s7, s5, 1
	s_sub_i32 s6, 0x1000, s6
	s_delay_alu instid0(SALU_CYCLE_1)
	s_sub_i32 s10, s6, s4
	s_cmp_ge_u32 s6, s4
	s_cselect_b32 s5, s7, s5
	s_cselect_b32 s6, s10, s6
	s_add_i32 s7, s5, 1
	s_cmp_ge_u32 s6, s4
	s_cselect_b32 s1, s7, s5
	s_max_u32 s4, s4, 1
	s_add_i32 s1, s1, 1
	s_branch .LBB184_2
.LBB184_1:                              ;   in Loop: Header=BB184_2 Depth=1
	s_or_b32 exec_lo, exec_lo, s5
	v_cmp_gt_u32_e32 vcc_lo, s0, v18
	s_add_i32 s4, s4, -1
	s_barrier
	buffer_gl0_inv
	v_cndmask_b32_e32 v36, 0, v3, vcc_lo
	v_cmp_gt_u32_e32 vcc_lo, s0, v19
	v_cndmask_b32_e32 v37, 0, v2, vcc_lo
	v_cmp_gt_u32_e32 vcc_lo, s0, v20
	s_delay_alu instid0(VALU_DEP_4) | instskip(NEXT) | instid1(VALU_DEP_3)
	v_sub_nc_u32_e32 v36, v4, v36
	v_sub_nc_u32_e32 v37, v3, v37
	v_cndmask_b32_e32 v38, 0, v1, vcc_lo
	v_cmp_gt_u32_e32 vcc_lo, s0, v21
	s_delay_alu instid0(VALU_DEP_4) | instskip(NEXT) | instid1(VALU_DEP_4)
	v_add_nc_u32_e32 v4, v36, v4
	v_add_nc_u32_e32 v3, v37, v3
	v_cndmask_b32_e32 v39, 0, v5, vcc_lo
	v_cmp_gt_u32_e32 vcc_lo, s0, v22
	v_cndmask_b32_e32 v40, 0, v15, vcc_lo
	v_cmp_gt_u32_e32 vcc_lo, s0, v23
	s_delay_alu instid0(VALU_DEP_4) | instskip(NEXT) | instid1(VALU_DEP_3)
	v_sub_nc_u32_e32 v39, v1, v39
	v_sub_nc_u32_e32 v40, v5, v40
	v_cndmask_b32_e32 v41, 0, v14, vcc_lo
	v_cmp_gt_u32_e32 vcc_lo, s0, v24
	v_sub_nc_u32_e32 v38, v2, v38
	v_add_nc_u32_e32 v1, v39, v1
	v_add_nc_u32_e32 v5, v40, v5
	v_sub_nc_u32_e32 v41, v15, v41
	v_cndmask_b32_e32 v42, 0, v13, vcc_lo
	v_cmp_gt_u32_e32 vcc_lo, s0, v25
	v_add_nc_u32_e32 v2, v38, v2
	s_delay_alu instid0(VALU_DEP_4) | instskip(SKIP_3) | instid1(VALU_DEP_3)
	v_add_nc_u32_e32 v15, v41, v15
	v_cndmask_b32_e32 v43, 0, v16, vcc_lo
	v_cmp_gt_u32_e32 vcc_lo, s0, v26
	v_sub_nc_u32_e32 v42, v14, v42
	v_sub_nc_u32_e32 v43, v13, v43
	v_cndmask_b32_e32 v44, 0, v12, vcc_lo
	v_cmp_gt_u32_e32 vcc_lo, s0, v27
	s_delay_alu instid0(VALU_DEP_4) | instskip(NEXT) | instid1(VALU_DEP_4)
	v_add_nc_u32_e32 v14, v42, v14
	v_add_nc_u32_e32 v13, v43, v13
	v_cndmask_b32_e32 v45, 0, v11, vcc_lo
	v_cmp_gt_u32_e32 vcc_lo, s0, v28
	v_sub_nc_u32_e32 v44, v16, v44
	s_delay_alu instid0(VALU_DEP_3) | instskip(SKIP_2) | instid1(VALU_DEP_4)
	v_sub_nc_u32_e32 v45, v12, v45
	v_cndmask_b32_e32 v46, 0, v10, vcc_lo
	v_cmp_gt_u32_e32 vcc_lo, s0, v29
	v_add_nc_u32_e32 v16, v44, v16
	s_delay_alu instid0(VALU_DEP_4) | instskip(SKIP_2) | instid1(VALU_DEP_3)
	v_dual_cndmask_b32 v47, 0, v9 :: v_dual_add_nc_u32 v12, v45, v12
	v_cmp_gt_u32_e32 vcc_lo, s0, v30
	v_sub_nc_u32_e32 v46, v11, v46
	v_sub_nc_u32_e32 v47, v10, v47
	v_cndmask_b32_e32 v48, 0, v8, vcc_lo
	v_cmp_gt_u32_e32 vcc_lo, s0, v31
	s_delay_alu instid0(VALU_DEP_4) | instskip(NEXT) | instid1(VALU_DEP_4)
	v_add_nc_u32_e32 v11, v46, v11
	v_dual_cndmask_b32 v49, 0, v7 :: v_dual_add_nc_u32 v10, v47, v10
	v_cmp_gt_u32_e32 vcc_lo, s0, v32
	v_sub_nc_u32_e32 v48, v9, v48
	s_add_i32 s0, s1, s0
	s_delay_alu instid0(VALU_DEP_3) | instskip(NEXT) | instid1(VALU_DEP_2)
	v_sub_nc_u32_e32 v49, v8, v49
	v_dual_cndmask_b32 v50, 0, v6 :: v_dual_add_nc_u32 v9, v48, v9
	v_add_nc_u32_e32 v6, v35, v6
	s_and_b32 s0, s0, 0xfff
	s_delay_alu instid0(VALU_DEP_3) | instskip(NEXT) | instid1(VALU_DEP_3)
	v_add_nc_u32_e32 v8, v49, v8
	v_sub_nc_u32_e32 v50, v7, v50
	s_cmp_lg_u32 s4, 0
	s_delay_alu instid0(VALU_DEP_1)
	v_add_nc_u32_e32 v7, v50, v7
	s_cbranch_scc0 .LBB184_4
.LBB184_2:                              ; =>This Inner Loop Header: Depth=1
	s_waitcnt vmcnt(0)
	v_mov_b32_e32 v35, v6
	s_mov_b32 s5, exec_lo
	ds_store_b32 v17, v4 offset:1024
	s_waitcnt lgkmcnt(0)
	s_barrier
	buffer_gl0_inv
	v_cmpx_gt_u32_e64 s0, v33
	s_cbranch_execz .LBB184_1
; %bb.3:                                ;   in Loop: Header=BB184_2 Depth=1
	ds_load_b32 v35, v34 offset:4
	s_waitcnt lgkmcnt(0)
	v_sub_nc_u32_e32 v35, v6, v35
	s_branch .LBB184_1
.LBB184_4:
	v_lshlrev_b32_e32 v0, 2, v0
	s_add_u32 s0, s8, s2
	s_addc_u32 s1, s9, s3
	s_delay_alu instid0(VALU_DEP_1) | instskip(NEXT) | instid1(VALU_DEP_1)
	v_add_co_u32 v23, s2, s0, v0
	v_add_co_ci_u32_e64 v24, null, s1, 0, s2
	s_delay_alu instid0(VALU_DEP_2) | instskip(NEXT) | instid1(VALU_DEP_2)
	v_add_co_u32 v17, vcc_lo, 0x1000, v23
	v_add_co_ci_u32_e32 v18, vcc_lo, 0, v24, vcc_lo
	v_add_co_u32 v19, vcc_lo, v23, 0x2000
	v_add_co_ci_u32_e32 v20, vcc_lo, 0, v24, vcc_lo
	;; [unrolled: 2-line block ×3, first 2 shown]
	v_add_co_u32 v23, vcc_lo, 0x3000, v23
	global_store_b32 v[19:20], v16, off
	v_add_co_ci_u32_e32 v24, vcc_lo, 0, v24, vcc_lo
	s_clause 0xe
	global_store_b32 v0, v4, s[0:1]
	global_store_b32 v0, v3, s[0:1] offset:1024
	global_store_b32 v0, v2, s[0:1] offset:2048
	global_store_b32 v0, v1, s[0:1] offset:3072
	global_store_b32 v[17:18], v15, off offset:1024
	global_store_b32 v[17:18], v14, off offset:2048
	;; [unrolled: 1-line block ×6, first 2 shown]
	global_store_b32 v[23:24], v9, off
	global_store_b32 v[23:24], v8, off offset:1024
	global_store_b32 v[23:24], v7, off offset:2048
	global_store_b32 v[19:20], v5, off offset:-4096
	global_store_b32 v[23:24], v6, off offset:3072
	s_nop 0
	s_sendmsg sendmsg(MSG_DEALLOC_VGPRS)
	s_endpgm
	.section	.rodata,"a",@progbits
	.p2align	6, 0x0
	.amdhsa_kernel _Z6kernelI27subtract_right_partial_tileLj256ELj16ELb0EJPiS1_S1_jEEvDpT3_
		.amdhsa_group_segment_fixed_size 2048
		.amdhsa_private_segment_fixed_size 0
		.amdhsa_kernarg_size 28
		.amdhsa_user_sgpr_count 15
		.amdhsa_user_sgpr_dispatch_ptr 0
		.amdhsa_user_sgpr_queue_ptr 0
		.amdhsa_user_sgpr_kernarg_segment_ptr 1
		.amdhsa_user_sgpr_dispatch_id 0
		.amdhsa_user_sgpr_private_segment_size 0
		.amdhsa_wavefront_size32 1
		.amdhsa_uses_dynamic_stack 0
		.amdhsa_enable_private_segment 0
		.amdhsa_system_sgpr_workgroup_id_x 1
		.amdhsa_system_sgpr_workgroup_id_y 0
		.amdhsa_system_sgpr_workgroup_id_z 0
		.amdhsa_system_sgpr_workgroup_info 0
		.amdhsa_system_vgpr_workitem_id 0
		.amdhsa_next_free_vgpr 51
		.amdhsa_next_free_sgpr 16
		.amdhsa_reserve_vcc 1
		.amdhsa_float_round_mode_32 0
		.amdhsa_float_round_mode_16_64 0
		.amdhsa_float_denorm_mode_32 3
		.amdhsa_float_denorm_mode_16_64 3
		.amdhsa_dx10_clamp 1
		.amdhsa_ieee_mode 1
		.amdhsa_fp16_overflow 0
		.amdhsa_workgroup_processor_mode 1
		.amdhsa_memory_ordered 1
		.amdhsa_forward_progress 0
		.amdhsa_shared_vgpr_count 0
		.amdhsa_exception_fp_ieee_invalid_op 0
		.amdhsa_exception_fp_denorm_src 0
		.amdhsa_exception_fp_ieee_div_zero 0
		.amdhsa_exception_fp_ieee_overflow 0
		.amdhsa_exception_fp_ieee_underflow 0
		.amdhsa_exception_fp_ieee_inexact 0
		.amdhsa_exception_int_div_zero 0
	.end_amdhsa_kernel
	.section	.text._Z6kernelI27subtract_right_partial_tileLj256ELj16ELb0EJPiS1_S1_jEEvDpT3_,"axG",@progbits,_Z6kernelI27subtract_right_partial_tileLj256ELj16ELb0EJPiS1_S1_jEEvDpT3_,comdat
.Lfunc_end184:
	.size	_Z6kernelI27subtract_right_partial_tileLj256ELj16ELb0EJPiS1_S1_jEEvDpT3_, .Lfunc_end184-_Z6kernelI27subtract_right_partial_tileLj256ELj16ELb0EJPiS1_S1_jEEvDpT3_
                                        ; -- End function
	.section	.AMDGPU.csdata,"",@progbits
; Kernel info:
; codeLenInByte = 1156
; NumSgprs: 18
; NumVgprs: 51
; ScratchSize: 0
; MemoryBound: 0
; FloatMode: 240
; IeeeMode: 1
; LDSByteSize: 2048 bytes/workgroup (compile time only)
; SGPRBlocks: 2
; VGPRBlocks: 6
; NumSGPRsForWavesPerEU: 18
; NumVGPRsForWavesPerEU: 51
; Occupancy: 16
; WaveLimiterHint : 1
; COMPUTE_PGM_RSRC2:SCRATCH_EN: 0
; COMPUTE_PGM_RSRC2:USER_SGPR: 15
; COMPUTE_PGM_RSRC2:TRAP_HANDLER: 0
; COMPUTE_PGM_RSRC2:TGID_X_EN: 1
; COMPUTE_PGM_RSRC2:TGID_Y_EN: 0
; COMPUTE_PGM_RSRC2:TGID_Z_EN: 0
; COMPUTE_PGM_RSRC2:TIDIG_COMP_CNT: 0
	.section	.text._Z6kernelI27subtract_right_partial_tileLj256ELj32ELb0EJPiS1_S1_jEEvDpT3_,"axG",@progbits,_Z6kernelI27subtract_right_partial_tileLj256ELj32ELb0EJPiS1_S1_jEEvDpT3_,comdat
	.protected	_Z6kernelI27subtract_right_partial_tileLj256ELj32ELb0EJPiS1_S1_jEEvDpT3_ ; -- Begin function _Z6kernelI27subtract_right_partial_tileLj256ELj32ELb0EJPiS1_S1_jEEvDpT3_
	.globl	_Z6kernelI27subtract_right_partial_tileLj256ELj32ELb0EJPiS1_S1_jEEvDpT3_
	.p2align	8
	.type	_Z6kernelI27subtract_right_partial_tileLj256ELj32ELb0EJPiS1_S1_jEEvDpT3_,@function
_Z6kernelI27subtract_right_partial_tileLj256ELj32ELb0EJPiS1_S1_jEEvDpT3_: ; @_Z6kernelI27subtract_right_partial_tileLj256ELj32ELb0EJPiS1_S1_jEEvDpT3_
; %bb.0:
	s_clause 0x1
	s_load_b128 s[4:7], s[0:1], 0x0
	s_load_b64 s[8:9], s[0:1], 0x10
	s_mov_b32 s13, 0
	s_lshl_b32 s12, s15, 13
	v_lshlrev_b32_e32 v25, 2, v0
	s_lshl_b64 s[2:3], s[12:13], 2
	s_mov_b32 s10, s15
	v_lshlrev_b32_e32 v65, 5, v0
	s_delay_alu instid0(VALU_DEP_1)
	v_or_b32_e32 v38, 5, v65
	v_or_b32_e32 v39, 6, v65
	;; [unrolled: 1-line block ×8, first 2 shown]
	s_waitcnt lgkmcnt(0)
	s_add_u32 s4, s4, s2
	s_addc_u32 s5, s5, s3
	v_add_co_u32 v30, s11, s4, v25
	s_delay_alu instid0(VALU_DEP_1)
	v_add_co_ci_u32_e64 v31, null, s5, 0, s11
	s_clause 0x3
	global_load_b32 v5, v25, s[4:5]
	global_load_b32 v4, v25, s[4:5] offset:1024
	global_load_b32 v3, v25, s[4:5] offset:2048
	;; [unrolled: 1-line block ×3, first 2 shown]
	v_add_co_u32 v6, vcc_lo, 0x1000, v30
	v_add_co_ci_u32_e32 v7, vcc_lo, 0, v31, vcc_lo
	v_add_co_u32 v10, vcc_lo, v30, 0x2000
	v_add_co_ci_u32_e32 v11, vcc_lo, 0, v31, vcc_lo
	;; [unrolled: 2-line block ×9, first 2 shown]
	v_add_co_u32 v36, vcc_lo, 0x7000, v30
	s_clause 0xd
	global_load_b32 v29, v[6:7], off offset:1024
	global_load_b32 v28, v[6:7], off offset:2048
	;; [unrolled: 1-line block ×8, first 2 shown]
	global_load_b32 v1, v[10:11], off offset:-4096
	global_load_b32 v14, v[10:11], off
	global_load_b32 v13, v[17:18], off offset:-4096
	global_load_b32 v12, v[17:18], off
	;; [unrolled: 2-line block ×3, first 2 shown]
	v_add_co_ci_u32_e32 v37, vcc_lo, 0, v31, vcc_lo
	s_clause 0xd
	global_load_b32 v33, v[15:16], off offset:3072
	global_load_b32 v32, v[19:20], off offset:1024
	;; [unrolled: 1-line block ×10, first 2 shown]
	global_load_b32 v18, v[36:37], off
	global_load_b32 v17, v[36:37], off offset:1024
	global_load_b32 v16, v[36:37], off offset:2048
	global_load_b32 v15, v[36:37], off offset:3072
	s_load_b32 s4, s[0:1], 0x18
	s_mov_b32 s11, s13
	v_or_b32_e32 v35, 2, v65
	s_lshl_b64 s[0:1], s[10:11], 2
	v_or_b32_e32 v36, 3, v65
	s_add_u32 s0, s6, s0
	s_addc_u32 s1, s7, s1
	v_or_b32_e32 v37, 4, v65
	s_load_b32 s0, s[0:1], 0x0
	v_or_b32_e32 v46, 13, v65
	v_or_b32_e32 v47, 14, v65
	;; [unrolled: 1-line block ×11, first 2 shown]
	s_waitcnt lgkmcnt(0)
	v_cvt_f32_u32_e32 v34, s4
	s_sub_i32 s6, 0, s4
	v_or_b32_e32 v57, 24, v65
	v_or_b32_e32 v58, 25, v65
	;; [unrolled: 1-line block ×3, first 2 shown]
	v_rcp_iflag_f32_e32 v34, v34
	v_or_b32_e32 v60, 27, v65
	v_or_b32_e32 v61, 28, v65
	;; [unrolled: 1-line block ×5, first 2 shown]
	s_waitcnt_depctr 0xfff
	v_mul_f32_e32 v34, 0x4f7ffffe, v34
	v_or_b32_e32 v66, 0x400, v25
	s_delay_alu instid0(VALU_DEP_2) | instskip(NEXT) | instid1(VALU_DEP_1)
	v_cvt_u32_f32_e32 v34, v34
	v_readfirstlane_b32 s5, v34
	v_or_b32_e32 v34, 1, v65
	v_add_nc_u32_e32 v65, 32, v65
	s_delay_alu instid0(VALU_DEP_3) | instskip(NEXT) | instid1(SALU_CYCLE_1)
	s_mul_i32 s6, s6, s5
	s_mul_hi_u32 s6, s5, s6
	s_delay_alu instid0(SALU_CYCLE_1) | instskip(NEXT) | instid1(SALU_CYCLE_1)
	s_add_i32 s5, s5, s6
	s_lshr_b32 s5, s5, 19
	s_delay_alu instid0(SALU_CYCLE_1) | instskip(SKIP_2) | instid1(SALU_CYCLE_1)
	s_mul_i32 s6, s5, s4
	s_add_i32 s7, s5, 1
	s_sub_i32 s6, 0x2000, s6
	s_sub_i32 s10, s6, s4
	s_cmp_ge_u32 s6, s4
	s_cselect_b32 s5, s7, s5
	s_cselect_b32 s6, s10, s6
	s_add_i32 s7, s5, 1
	s_cmp_ge_u32 s6, s4
	s_cselect_b32 s1, s7, s5
	s_max_u32 s4, s4, 1
	s_add_i32 s1, s1, 1
	s_branch .LBB185_2
.LBB185_1:                              ;   in Loop: Header=BB185_2 Depth=1
	s_or_b32 exec_lo, exec_lo, s5
	v_cmp_gt_u32_e32 vcc_lo, s0, v34
	s_add_i32 s4, s4, -1
	s_barrier
	buffer_gl0_inv
	v_cndmask_b32_e32 v68, 0, v4, vcc_lo
	v_cmp_gt_u32_e32 vcc_lo, s0, v35
	v_cndmask_b32_e32 v69, 0, v3, vcc_lo
	v_cmp_gt_u32_e32 vcc_lo, s0, v36
	s_delay_alu instid0(VALU_DEP_4) | instskip(NEXT) | instid1(VALU_DEP_3)
	v_sub_nc_u32_e32 v68, v5, v68
	v_sub_nc_u32_e32 v69, v4, v69
	v_cndmask_b32_e32 v70, 0, v2, vcc_lo
	v_cmp_gt_u32_e32 vcc_lo, s0, v37
	s_delay_alu instid0(VALU_DEP_4) | instskip(NEXT) | instid1(VALU_DEP_4)
	v_add_nc_u32_e32 v5, v68, v5
	v_dual_cndmask_b32 v71, 0, v1 :: v_dual_add_nc_u32 v4, v69, v4
	v_cmp_gt_u32_e32 vcc_lo, s0, v38
	v_sub_nc_u32_e32 v70, v3, v70
	s_delay_alu instid0(VALU_DEP_3) | instskip(SKIP_2) | instid1(VALU_DEP_3)
	v_sub_nc_u32_e32 v71, v2, v71
	v_cndmask_b32_e32 v72, 0, v29, vcc_lo
	v_cmp_gt_u32_e32 vcc_lo, s0, v39
	v_dual_cndmask_b32 v73, 0, v28 :: v_dual_add_nc_u32 v2, v71, v2
	v_cmp_gt_u32_e32 vcc_lo, s0, v40
	s_delay_alu instid0(VALU_DEP_4) | instskip(NEXT) | instid1(VALU_DEP_3)
	v_sub_nc_u32_e32 v72, v1, v72
	v_sub_nc_u32_e32 v73, v29, v73
	v_cndmask_b32_e32 v74, 0, v27, vcc_lo
	v_cmp_gt_u32_e32 vcc_lo, s0, v41
	s_delay_alu instid0(VALU_DEP_3) | instskip(SKIP_3) | instid1(VALU_DEP_3)
	v_add_nc_u32_e32 v29, v73, v29
	v_cndmask_b32_e32 v75, 0, v14, vcc_lo
	v_cmp_gt_u32_e32 vcc_lo, s0, v42
	v_sub_nc_u32_e32 v74, v28, v74
	v_sub_nc_u32_e32 v75, v27, v75
	v_cndmask_b32_e32 v76, 0, v26, vcc_lo
	v_cmp_gt_u32_e32 vcc_lo, s0, v43
	s_delay_alu instid0(VALU_DEP_4) | instskip(NEXT) | instid1(VALU_DEP_4)
	v_add_nc_u32_e32 v28, v74, v28
	v_add_nc_u32_e32 v27, v75, v27
	v_cndmask_b32_e32 v77, 0, v7, vcc_lo
	v_cmp_gt_u32_e32 vcc_lo, s0, v44
	v_sub_nc_u32_e32 v76, v14, v76
	s_delay_alu instid0(VALU_DEP_3) | instskip(SKIP_2) | instid1(VALU_DEP_4)
	v_sub_nc_u32_e32 v77, v26, v77
	v_cndmask_b32_e32 v78, 0, v6, vcc_lo
	v_cmp_gt_u32_e32 vcc_lo, s0, v45
	v_add_nc_u32_e32 v14, v76, v14
	s_delay_alu instid0(VALU_DEP_4) | instskip(SKIP_2) | instid1(VALU_DEP_3)
	v_dual_cndmask_b32 v79, 0, v13 :: v_dual_add_nc_u32 v26, v77, v26
	v_cmp_gt_u32_e32 vcc_lo, s0, v46
	v_sub_nc_u32_e32 v78, v7, v78
	v_sub_nc_u32_e32 v79, v6, v79
	v_cndmask_b32_e32 v80, 0, v9, vcc_lo
	v_cmp_gt_u32_e32 vcc_lo, s0, v47
	s_delay_alu instid0(VALU_DEP_4) | instskip(NEXT) | instid1(VALU_DEP_4)
	v_add_nc_u32_e32 v7, v78, v7
	v_dual_cndmask_b32 v81, 0, v8 :: v_dual_add_nc_u32 v6, v79, v6
	v_cmp_gt_u32_e32 vcc_lo, s0, v48
	v_sub_nc_u32_e32 v80, v13, v80
	s_delay_alu instid0(VALU_DEP_3) | instskip(SKIP_2) | instid1(VALU_DEP_4)
	v_sub_nc_u32_e32 v81, v9, v81
	v_cndmask_b32_e32 v82, 0, v33, vcc_lo
	v_cmp_gt_u32_e32 vcc_lo, s0, v49
	v_add_nc_u32_e32 v13, v80, v13
	s_delay_alu instid0(VALU_DEP_4) | instskip(SKIP_3) | instid1(VALU_DEP_3)
	v_add_nc_u32_e32 v9, v81, v9
	v_cndmask_b32_e32 v83, 0, v12, vcc_lo
	v_cmp_gt_u32_e32 vcc_lo, s0, v50
	v_sub_nc_u32_e32 v82, v8, v82
	v_sub_nc_u32_e32 v83, v33, v83
	v_cndmask_b32_e32 v84, 0, v32, vcc_lo
	v_cmp_gt_u32_e32 vcc_lo, s0, v51
	s_delay_alu instid0(VALU_DEP_4) | instskip(NEXT) | instid1(VALU_DEP_4)
	v_add_nc_u32_e32 v8, v82, v8
	v_add_nc_u32_e32 v33, v83, v33
	v_cndmask_b32_e32 v85, 0, v31, vcc_lo
	v_cmp_gt_u32_e32 vcc_lo, s0, v52
	v_sub_nc_u32_e32 v84, v12, v84
	s_delay_alu instid0(VALU_DEP_3) | instskip(SKIP_2) | instid1(VALU_DEP_4)
	v_sub_nc_u32_e32 v85, v32, v85
	v_cndmask_b32_e32 v86, 0, v30, vcc_lo
	v_cmp_gt_u32_e32 vcc_lo, s0, v53
	v_add_nc_u32_e32 v12, v84, v12
	s_delay_alu instid0(VALU_DEP_4) | instskip(SKIP_2) | instid1(VALU_DEP_3)
	v_dual_cndmask_b32 v87, 0, v11 :: v_dual_add_nc_u32 v32, v85, v32
	v_cmp_gt_u32_e32 vcc_lo, s0, v54
	v_sub_nc_u32_e32 v86, v31, v86
	v_sub_nc_u32_e32 v87, v30, v87
	v_cndmask_b32_e32 v88, 0, v24, vcc_lo
	v_cmp_gt_u32_e32 vcc_lo, s0, v55
	s_delay_alu instid0(VALU_DEP_4) | instskip(NEXT) | instid1(VALU_DEP_4)
	v_add_nc_u32_e32 v31, v86, v31
	v_add_nc_u32_e32 v30, v87, v30
	s_delay_alu instid0(VALU_DEP_4) | instskip(SKIP_2) | instid1(VALU_DEP_3)
	v_sub_nc_u32_e32 v88, v11, v88
	v_cndmask_b32_e32 v68, 0, v23, vcc_lo
	v_cmp_gt_u32_e32 vcc_lo, s0, v56
	v_add_nc_u32_e32 v11, v88, v11
	v_cndmask_b32_e32 v69, 0, v22, vcc_lo
	v_cmp_gt_u32_e32 vcc_lo, s0, v57
	v_add_nc_u32_e32 v3, v70, v3
	v_sub_nc_u32_e32 v68, v24, v68
	s_delay_alu instid0(VALU_DEP_4) | instskip(SKIP_2) | instid1(VALU_DEP_4)
	v_sub_nc_u32_e32 v69, v23, v69
	v_cndmask_b32_e32 v70, 0, v10, vcc_lo
	v_cmp_gt_u32_e32 vcc_lo, s0, v58
	v_add_nc_u32_e32 v24, v68, v24
	s_delay_alu instid0(VALU_DEP_4) | instskip(NEXT) | instid1(VALU_DEP_4)
	v_add_nc_u32_e32 v23, v69, v23
	v_sub_nc_u32_e32 v70, v22, v70
	v_cndmask_b32_e32 v71, 0, v21, vcc_lo
	v_cmp_gt_u32_e32 vcc_lo, s0, v59
	v_add_nc_u32_e32 v1, v72, v1
	s_delay_alu instid0(VALU_DEP_4) | instskip(NEXT) | instid1(VALU_DEP_4)
	v_add_nc_u32_e32 v22, v70, v22
	v_sub_nc_u32_e32 v71, v10, v71
	v_cndmask_b32_e32 v72, 0, v20, vcc_lo
	v_cmp_gt_u32_e32 vcc_lo, s0, v60
	s_delay_alu instid0(VALU_DEP_3) | instskip(NEXT) | instid1(VALU_DEP_3)
	v_add_nc_u32_e32 v10, v71, v10
	v_sub_nc_u32_e32 v72, v21, v72
	v_cndmask_b32_e32 v73, 0, v19, vcc_lo
	v_cmp_gt_u32_e32 vcc_lo, s0, v61
	s_delay_alu instid0(VALU_DEP_3) | instskip(NEXT) | instid1(VALU_DEP_3)
	;; [unrolled: 5-line block ×4, first 2 shown]
	v_add_nc_u32_e32 v19, v74, v19
	v_sub_nc_u32_e32 v75, v18, v75
	v_cndmask_b32_e32 v76, 0, v16, vcc_lo
	v_cmp_gt_u32_e32 vcc_lo, s0, v64
	s_add_i32 s0, s1, s0
	s_delay_alu instid0(VALU_DEP_3) | instskip(NEXT) | instid1(VALU_DEP_3)
	v_add_nc_u32_e32 v18, v75, v18
	v_sub_nc_u32_e32 v76, v17, v76
	v_cndmask_b32_e32 v77, 0, v15, vcc_lo
	v_add_nc_u32_e32 v15, v67, v15
	s_and_b32 s0, s0, 0x1fff
	s_cmp_lg_u32 s4, 0
	v_add_nc_u32_e32 v17, v76, v17
	v_sub_nc_u32_e32 v77, v16, v77
	s_delay_alu instid0(VALU_DEP_1)
	v_add_nc_u32_e32 v16, v77, v16
	s_cbranch_scc0 .LBB185_4
.LBB185_2:                              ; =>This Inner Loop Header: Depth=1
	s_waitcnt vmcnt(0)
	v_mov_b32_e32 v67, v15
	s_mov_b32 s5, exec_lo
	ds_store_b32 v25, v5 offset:1024
	s_waitcnt lgkmcnt(0)
	s_barrier
	buffer_gl0_inv
	v_cmpx_gt_u32_e64 s0, v65
	s_cbranch_execz .LBB185_1
; %bb.3:                                ;   in Loop: Header=BB185_2 Depth=1
	ds_load_b32 v67, v66 offset:4
	s_waitcnt lgkmcnt(0)
	v_sub_nc_u32_e32 v67, v15, v67
	s_branch .LBB185_1
.LBB185_4:
	v_lshlrev_b32_e32 v0, 2, v0
	s_add_u32 s0, s8, s2
	s_addc_u32 s1, s9, s3
	s_delay_alu instid0(VALU_DEP_1) | instskip(NEXT) | instid1(VALU_DEP_1)
	v_add_co_u32 v40, s2, s0, v0
	v_add_co_ci_u32_e64 v41, null, s1, 0, s2
	s_delay_alu instid0(VALU_DEP_2) | instskip(NEXT) | instid1(VALU_DEP_2)
	v_add_co_u32 v34, vcc_lo, 0x1000, v40
	v_add_co_ci_u32_e32 v35, vcc_lo, 0, v41, vcc_lo
	v_add_co_u32 v36, vcc_lo, v40, 0x2000
	v_add_co_ci_u32_e32 v37, vcc_lo, 0, v41, vcc_lo
	;; [unrolled: 2-line block ×3, first 2 shown]
	s_clause 0x7
	global_store_b32 v0, v5, s[0:1]
	global_store_b32 v0, v4, s[0:1] offset:1024
	global_store_b32 v0, v3, s[0:1] offset:2048
	global_store_b32 v0, v2, s[0:1] offset:3072
	global_store_b32 v[34:35], v29, off offset:1024
	global_store_b32 v[34:35], v28, off offset:2048
	;; [unrolled: 1-line block ×4, first 2 shown]
	v_add_co_u32 v2, vcc_lo, 0x3000, v40
	v_add_co_ci_u32_e32 v3, vcc_lo, 0, v41, vcc_lo
	v_add_co_u32 v4, vcc_lo, v40, 0x4000
	v_add_co_ci_u32_e32 v5, vcc_lo, 0, v41, vcc_lo
	;; [unrolled: 2-line block ×3, first 2 shown]
	s_clause 0x7
	global_store_b32 v[38:39], v7, off offset:2048
	global_store_b32 v[38:39], v6, off offset:3072
	;; [unrolled: 1-line block ×8, first 2 shown]
	v_add_co_u32 v2, vcc_lo, 0x5000, v40
	v_add_co_ci_u32_e32 v3, vcc_lo, 0, v41, vcc_lo
	v_add_co_u32 v6, vcc_lo, v40, 0x6000
	v_add_co_ci_u32_e32 v7, vcc_lo, 0, v41, vcc_lo
	;; [unrolled: 2-line block ×3, first 2 shown]
	s_clause 0x4
	global_store_b32 v[36:37], v14, off
	global_store_b32 v[4:5], v13, off offset:-4096
	global_store_b32 v[4:5], v12, off
	global_store_b32 v[6:7], v11, off offset:-4096
	global_store_b32 v[6:7], v10, off
	v_add_co_u32 v4, vcc_lo, 0x7000, v40
	v_add_co_ci_u32_e32 v5, vcc_lo, 0, v41, vcc_lo
	s_clause 0xa
	global_store_b32 v[2:3], v24, off offset:1024
	global_store_b32 v[2:3], v23, off offset:2048
	;; [unrolled: 1-line block ×6, first 2 shown]
	global_store_b32 v[4:5], v18, off
	global_store_b32 v[4:5], v17, off offset:1024
	global_store_b32 v[4:5], v16, off offset:2048
	global_store_b32 v[36:37], v1, off offset:-4096
	global_store_b32 v[4:5], v15, off offset:3072
	s_nop 0
	s_sendmsg sendmsg(MSG_DEALLOC_VGPRS)
	s_endpgm
	.section	.rodata,"a",@progbits
	.p2align	6, 0x0
	.amdhsa_kernel _Z6kernelI27subtract_right_partial_tileLj256ELj32ELb0EJPiS1_S1_jEEvDpT3_
		.amdhsa_group_segment_fixed_size 2048
		.amdhsa_private_segment_fixed_size 0
		.amdhsa_kernarg_size 28
		.amdhsa_user_sgpr_count 15
		.amdhsa_user_sgpr_dispatch_ptr 0
		.amdhsa_user_sgpr_queue_ptr 0
		.amdhsa_user_sgpr_kernarg_segment_ptr 1
		.amdhsa_user_sgpr_dispatch_id 0
		.amdhsa_user_sgpr_private_segment_size 0
		.amdhsa_wavefront_size32 1
		.amdhsa_uses_dynamic_stack 0
		.amdhsa_enable_private_segment 0
		.amdhsa_system_sgpr_workgroup_id_x 1
		.amdhsa_system_sgpr_workgroup_id_y 0
		.amdhsa_system_sgpr_workgroup_id_z 0
		.amdhsa_system_sgpr_workgroup_info 0
		.amdhsa_system_vgpr_workitem_id 0
		.amdhsa_next_free_vgpr 89
		.amdhsa_next_free_sgpr 16
		.amdhsa_reserve_vcc 1
		.amdhsa_float_round_mode_32 0
		.amdhsa_float_round_mode_16_64 0
		.amdhsa_float_denorm_mode_32 3
		.amdhsa_float_denorm_mode_16_64 3
		.amdhsa_dx10_clamp 1
		.amdhsa_ieee_mode 1
		.amdhsa_fp16_overflow 0
		.amdhsa_workgroup_processor_mode 1
		.amdhsa_memory_ordered 1
		.amdhsa_forward_progress 0
		.amdhsa_shared_vgpr_count 0
		.amdhsa_exception_fp_ieee_invalid_op 0
		.amdhsa_exception_fp_denorm_src 0
		.amdhsa_exception_fp_ieee_div_zero 0
		.amdhsa_exception_fp_ieee_overflow 0
		.amdhsa_exception_fp_ieee_underflow 0
		.amdhsa_exception_fp_ieee_inexact 0
		.amdhsa_exception_int_div_zero 0
	.end_amdhsa_kernel
	.section	.text._Z6kernelI27subtract_right_partial_tileLj256ELj32ELb0EJPiS1_S1_jEEvDpT3_,"axG",@progbits,_Z6kernelI27subtract_right_partial_tileLj256ELj32ELb0EJPiS1_S1_jEEvDpT3_,comdat
.Lfunc_end185:
	.size	_Z6kernelI27subtract_right_partial_tileLj256ELj32ELb0EJPiS1_S1_jEEvDpT3_, .Lfunc_end185-_Z6kernelI27subtract_right_partial_tileLj256ELj32ELb0EJPiS1_S1_jEEvDpT3_
                                        ; -- End function
	.section	.AMDGPU.csdata,"",@progbits
; Kernel info:
; codeLenInByte = 1988
; NumSgprs: 18
; NumVgprs: 89
; ScratchSize: 0
; MemoryBound: 0
; FloatMode: 240
; IeeeMode: 1
; LDSByteSize: 2048 bytes/workgroup (compile time only)
; SGPRBlocks: 2
; VGPRBlocks: 11
; NumSGPRsForWavesPerEU: 18
; NumVGPRsForWavesPerEU: 89
; Occupancy: 16
; WaveLimiterHint : 1
; COMPUTE_PGM_RSRC2:SCRATCH_EN: 0
; COMPUTE_PGM_RSRC2:USER_SGPR: 15
; COMPUTE_PGM_RSRC2:TRAP_HANDLER: 0
; COMPUTE_PGM_RSRC2:TGID_X_EN: 1
; COMPUTE_PGM_RSRC2:TGID_Y_EN: 0
; COMPUTE_PGM_RSRC2:TGID_Z_EN: 0
; COMPUTE_PGM_RSRC2:TIDIG_COMP_CNT: 0
	.section	.text._Z6kernelI27subtract_right_partial_tileLj256ELj1ELb0EJPfPiS1_jEEvDpT3_,"axG",@progbits,_Z6kernelI27subtract_right_partial_tileLj256ELj1ELb0EJPfPiS1_jEEvDpT3_,comdat
	.protected	_Z6kernelI27subtract_right_partial_tileLj256ELj1ELb0EJPfPiS1_jEEvDpT3_ ; -- Begin function _Z6kernelI27subtract_right_partial_tileLj256ELj1ELb0EJPfPiS1_jEEvDpT3_
	.globl	_Z6kernelI27subtract_right_partial_tileLj256ELj1ELb0EJPfPiS1_jEEvDpT3_
	.p2align	8
	.type	_Z6kernelI27subtract_right_partial_tileLj256ELj1ELb0EJPfPiS1_jEEvDpT3_,@function
_Z6kernelI27subtract_right_partial_tileLj256ELj1ELb0EJPfPiS1_jEEvDpT3_: ; @_Z6kernelI27subtract_right_partial_tileLj256ELj1ELb0EJPfPiS1_jEEvDpT3_
; %bb.0:
	s_clause 0x1
	s_load_b128 s[8:11], s[0:1], 0x0
	s_load_b64 s[4:5], s[0:1], 0x10
	s_lshl_b32 s12, s15, 8
	s_mov_b32 s13, 0
	v_lshlrev_b32_e32 v2, 2, v0
	s_lshl_b64 s[2:3], s[12:13], 2
	s_mov_b32 s6, s15
	s_mov_b32 s7, s13
	s_waitcnt lgkmcnt(0)
	s_add_u32 s8, s8, s2
	s_addc_u32 s9, s9, s3
	global_load_b32 v1, v2, s[8:9]
	s_load_b32 s8, s[0:1], 0x18
	s_lshl_b64 s[0:1], s[6:7], 2
	s_delay_alu instid0(SALU_CYCLE_1)
	s_add_u32 s0, s10, s0
	s_addc_u32 s1, s11, s1
	s_load_b32 s0, s[0:1], 0x0
	s_waitcnt lgkmcnt(0)
	v_cvt_f32_u32_e32 v3, s8
	s_sub_i32 s7, 0, s8
	s_delay_alu instid0(VALU_DEP_1) | instskip(SKIP_3) | instid1(VALU_DEP_2)
	v_rcp_iflag_f32_e32 v3, v3
	s_waitcnt_depctr 0xfff
	v_mul_f32_e32 v3, 0x4f7ffffe, v3
	v_or_b32_e32 v4, 0x400, v2
	v_cvt_u32_f32_e32 v3, v3
	s_delay_alu instid0(VALU_DEP_1) | instskip(SKIP_1) | instid1(VALU_DEP_2)
	v_readfirstlane_b32 s6, v3
	v_add_nc_u32_e32 v3, 1, v0
	s_mul_i32 s7, s7, s6
	s_delay_alu instid0(SALU_CYCLE_1) | instskip(NEXT) | instid1(SALU_CYCLE_1)
	s_mul_hi_u32 s7, s6, s7
	s_add_i32 s6, s6, s7
	s_delay_alu instid0(SALU_CYCLE_1) | instskip(NEXT) | instid1(SALU_CYCLE_1)
	s_lshr_b32 s6, s6, 24
	s_mul_i32 s1, s6, s8
	s_add_i32 s7, s6, 1
	s_sub_i32 s1, 0x100, s1
	s_delay_alu instid0(SALU_CYCLE_1)
	s_sub_i32 s9, s1, s8
	s_cmp_ge_u32 s1, s8
	s_cselect_b32 s6, s7, s6
	s_cselect_b32 s1, s9, s1
	s_add_i32 s7, s6, 1
	s_cmp_ge_u32 s1, s8
	s_cselect_b32 s1, s7, s6
	s_max_u32 s6, s8, 1
	s_add_i32 s1, s1, 1
	s_branch .LBB186_2
	.p2align	6
.LBB186_1:                              ;   in Loop: Header=BB186_2 Depth=1
	s_or_b32 exec_lo, exec_lo, s7
	s_add_i32 s0, s1, s0
	s_delay_alu instid0(VALU_DEP_1)
	v_add_f32_e32 v1, v1, v5
	s_add_i32 s6, s6, -1
	s_and_b32 s0, s0, 0xff
	s_cmp_lg_u32 s6, 0
	s_barrier
	buffer_gl0_inv
	s_cbranch_scc0 .LBB186_4
.LBB186_2:                              ; =>This Inner Loop Header: Depth=1
	s_waitcnt vmcnt(0)
	v_mov_b32_e32 v5, v1
	s_mov_b32 s7, exec_lo
	ds_store_b32 v2, v1 offset:1024
	s_waitcnt lgkmcnt(0)
	s_barrier
	buffer_gl0_inv
	v_cmpx_gt_u32_e64 s0, v3
	s_cbranch_execz .LBB186_1
; %bb.3:                                ;   in Loop: Header=BB186_2 Depth=1
	ds_load_b32 v5, v4 offset:4
	s_waitcnt lgkmcnt(0)
	v_sub_f32_e32 v5, v1, v5
	s_branch .LBB186_1
.LBB186_4:
	v_lshlrev_b32_e32 v0, 2, v0
	s_add_u32 s0, s4, s2
	s_addc_u32 s1, s5, s3
	global_store_b32 v0, v1, s[0:1]
	s_nop 0
	s_sendmsg sendmsg(MSG_DEALLOC_VGPRS)
	s_endpgm
	.section	.rodata,"a",@progbits
	.p2align	6, 0x0
	.amdhsa_kernel _Z6kernelI27subtract_right_partial_tileLj256ELj1ELb0EJPfPiS1_jEEvDpT3_
		.amdhsa_group_segment_fixed_size 2048
		.amdhsa_private_segment_fixed_size 0
		.amdhsa_kernarg_size 28
		.amdhsa_user_sgpr_count 15
		.amdhsa_user_sgpr_dispatch_ptr 0
		.amdhsa_user_sgpr_queue_ptr 0
		.amdhsa_user_sgpr_kernarg_segment_ptr 1
		.amdhsa_user_sgpr_dispatch_id 0
		.amdhsa_user_sgpr_private_segment_size 0
		.amdhsa_wavefront_size32 1
		.amdhsa_uses_dynamic_stack 0
		.amdhsa_enable_private_segment 0
		.amdhsa_system_sgpr_workgroup_id_x 1
		.amdhsa_system_sgpr_workgroup_id_y 0
		.amdhsa_system_sgpr_workgroup_id_z 0
		.amdhsa_system_sgpr_workgroup_info 0
		.amdhsa_system_vgpr_workitem_id 0
		.amdhsa_next_free_vgpr 6
		.amdhsa_next_free_sgpr 16
		.amdhsa_reserve_vcc 0
		.amdhsa_float_round_mode_32 0
		.amdhsa_float_round_mode_16_64 0
		.amdhsa_float_denorm_mode_32 3
		.amdhsa_float_denorm_mode_16_64 3
		.amdhsa_dx10_clamp 1
		.amdhsa_ieee_mode 1
		.amdhsa_fp16_overflow 0
		.amdhsa_workgroup_processor_mode 1
		.amdhsa_memory_ordered 1
		.amdhsa_forward_progress 0
		.amdhsa_shared_vgpr_count 0
		.amdhsa_exception_fp_ieee_invalid_op 0
		.amdhsa_exception_fp_denorm_src 0
		.amdhsa_exception_fp_ieee_div_zero 0
		.amdhsa_exception_fp_ieee_overflow 0
		.amdhsa_exception_fp_ieee_underflow 0
		.amdhsa_exception_fp_ieee_inexact 0
		.amdhsa_exception_int_div_zero 0
	.end_amdhsa_kernel
	.section	.text._Z6kernelI27subtract_right_partial_tileLj256ELj1ELb0EJPfPiS1_jEEvDpT3_,"axG",@progbits,_Z6kernelI27subtract_right_partial_tileLj256ELj1ELb0EJPfPiS1_jEEvDpT3_,comdat
.Lfunc_end186:
	.size	_Z6kernelI27subtract_right_partial_tileLj256ELj1ELb0EJPfPiS1_jEEvDpT3_, .Lfunc_end186-_Z6kernelI27subtract_right_partial_tileLj256ELj1ELb0EJPfPiS1_jEEvDpT3_
                                        ; -- End function
	.section	.AMDGPU.csdata,"",@progbits
; Kernel info:
; codeLenInByte = 384
; NumSgprs: 16
; NumVgprs: 6
; ScratchSize: 0
; MemoryBound: 0
; FloatMode: 240
; IeeeMode: 1
; LDSByteSize: 2048 bytes/workgroup (compile time only)
; SGPRBlocks: 1
; VGPRBlocks: 0
; NumSGPRsForWavesPerEU: 16
; NumVGPRsForWavesPerEU: 6
; Occupancy: 16
; WaveLimiterHint : 0
; COMPUTE_PGM_RSRC2:SCRATCH_EN: 0
; COMPUTE_PGM_RSRC2:USER_SGPR: 15
; COMPUTE_PGM_RSRC2:TRAP_HANDLER: 0
; COMPUTE_PGM_RSRC2:TGID_X_EN: 1
; COMPUTE_PGM_RSRC2:TGID_Y_EN: 0
; COMPUTE_PGM_RSRC2:TGID_Z_EN: 0
; COMPUTE_PGM_RSRC2:TIDIG_COMP_CNT: 0
	.section	.text._Z6kernelI27subtract_right_partial_tileLj256ELj3ELb0EJPfPiS1_jEEvDpT3_,"axG",@progbits,_Z6kernelI27subtract_right_partial_tileLj256ELj3ELb0EJPfPiS1_jEEvDpT3_,comdat
	.protected	_Z6kernelI27subtract_right_partial_tileLj256ELj3ELb0EJPfPiS1_jEEvDpT3_ ; -- Begin function _Z6kernelI27subtract_right_partial_tileLj256ELj3ELb0EJPfPiS1_jEEvDpT3_
	.globl	_Z6kernelI27subtract_right_partial_tileLj256ELj3ELb0EJPfPiS1_jEEvDpT3_
	.p2align	8
	.type	_Z6kernelI27subtract_right_partial_tileLj256ELj3ELb0EJPfPiS1_jEEvDpT3_,@function
_Z6kernelI27subtract_right_partial_tileLj256ELj3ELb0EJPfPiS1_jEEvDpT3_: ; @_Z6kernelI27subtract_right_partial_tileLj256ELj3ELb0EJPfPiS1_jEEvDpT3_
; %bb.0:
	s_clause 0x1
	s_load_b128 s[8:11], s[0:1], 0x0
	s_load_b64 s[4:5], s[0:1], 0x10
	s_mov_b32 s13, 0
	s_mul_i32 s12, s15, 0x300
	v_lshlrev_b32_e32 v4, 2, v0
	s_lshl_b64 s[2:3], s[12:13], 2
	s_mov_b32 s6, s15
	s_mov_b32 s7, s13
	v_mad_u32_u24 v6, v0, 3, 2
	v_mad_u32_u24 v7, v0, 3, 3
	s_waitcnt lgkmcnt(0)
	s_add_u32 s8, s8, s2
	s_addc_u32 s9, s9, s3
	s_clause 0x2
	global_load_b32 v1, v4, s[8:9]
	global_load_b32 v2, v4, s[8:9] offset:1024
	global_load_b32 v3, v4, s[8:9] offset:2048
	s_load_b32 s8, s[0:1], 0x18
	s_lshl_b64 s[0:1], s[6:7], 2
	s_delay_alu instid0(SALU_CYCLE_1)
	s_add_u32 s0, s10, s0
	s_addc_u32 s1, s11, s1
	s_load_b32 s0, s[0:1], 0x0
	s_waitcnt lgkmcnt(0)
	v_cvt_f32_u32_e32 v5, s8
	s_sub_i32 s7, 0, s8
	s_delay_alu instid0(VALU_DEP_1) | instskip(SKIP_3) | instid1(VALU_DEP_2)
	v_rcp_iflag_f32_e32 v5, v5
	s_waitcnt_depctr 0xfff
	v_mul_f32_e32 v5, 0x4f7ffffe, v5
	v_or_b32_e32 v8, 0x400, v4
	v_cvt_u32_f32_e32 v5, v5
	s_delay_alu instid0(VALU_DEP_1) | instskip(SKIP_1) | instid1(VALU_DEP_2)
	v_readfirstlane_b32 s6, v5
	v_mad_u32_u24 v5, v0, 3, 1
	s_mul_i32 s7, s7, s6
	s_delay_alu instid0(SALU_CYCLE_1) | instskip(NEXT) | instid1(SALU_CYCLE_1)
	s_mul_hi_u32 s7, s6, s7
	s_add_i32 s6, s6, s7
	s_delay_alu instid0(SALU_CYCLE_1) | instskip(NEXT) | instid1(SALU_CYCLE_1)
	s_mul_hi_u32 s6, s6, 0x300
	s_mul_i32 s7, s6, s8
	s_delay_alu instid0(SALU_CYCLE_1)
	s_sub_i32 s1, 0x300, s7
	s_add_i32 s7, s6, 1
	s_sub_i32 s9, s1, s8
	s_cmp_ge_u32 s1, s8
	s_cselect_b32 s6, s7, s6
	s_cselect_b32 s1, s9, s1
	s_add_i32 s7, s6, 1
	s_cmp_ge_u32 s1, s8
	s_cselect_b32 s1, s7, s6
	s_max_u32 s6, s8, 1
	s_add_i32 s1, s1, 1
	s_set_inst_prefetch_distance 0x1
	s_branch .LBB187_2
	.p2align	6
.LBB187_1:                              ;   in Loop: Header=BB187_2 Depth=1
	s_or_b32 exec_lo, exec_lo, s7
	s_add_i32 s0, s1, s0
	v_dual_add_f32 v1, v1, v9 :: v_dual_add_f32 v2, v2, v10
	s_mul_hi_u32 s7, s0, 0xaaaaaaab
	v_add_f32_e32 v3, v3, v11
	s_lshr_b32 s7, s7, 9
	s_add_i32 s6, s6, -1
	s_mulk_i32 s7, 0x300
	s_delay_alu instid0(SALU_CYCLE_1)
	s_sub_i32 s0, s0, s7
	s_cmp_lg_u32 s6, 0
	s_barrier
	buffer_gl0_inv
	s_cbranch_scc0 .LBB187_4
.LBB187_2:                              ; =>This Inner Loop Header: Depth=1
	s_waitcnt vmcnt(0)
	v_dual_sub_f32 v9, v1, v2 :: v_dual_sub_f32 v10, v2, v3
	v_cmp_gt_u32_e32 vcc_lo, s0, v5
	v_mov_b32_e32 v11, v3
	s_mov_b32 s7, exec_lo
	ds_store_b32 v4, v1 offset:1024
	s_waitcnt lgkmcnt(0)
	v_cndmask_b32_e32 v9, v1, v9, vcc_lo
	v_cmp_gt_u32_e32 vcc_lo, s0, v6
	s_barrier
	buffer_gl0_inv
	v_cndmask_b32_e32 v10, v2, v10, vcc_lo
	v_cmpx_gt_u32_e64 s0, v7
	s_cbranch_execz .LBB187_1
; %bb.3:                                ;   in Loop: Header=BB187_2 Depth=1
	ds_load_b32 v11, v8 offset:4
	s_waitcnt lgkmcnt(0)
	v_sub_f32_e32 v11, v3, v11
	s_branch .LBB187_1
.LBB187_4:
	s_set_inst_prefetch_distance 0x2
	v_lshlrev_b32_e32 v0, 2, v0
	s_add_u32 s0, s4, s2
	s_addc_u32 s1, s5, s3
	s_clause 0x2
	global_store_b32 v0, v1, s[0:1]
	global_store_b32 v0, v2, s[0:1] offset:1024
	global_store_b32 v0, v3, s[0:1] offset:2048
	s_nop 0
	s_sendmsg sendmsg(MSG_DEALLOC_VGPRS)
	s_endpgm
	.section	.rodata,"a",@progbits
	.p2align	6, 0x0
	.amdhsa_kernel _Z6kernelI27subtract_right_partial_tileLj256ELj3ELb0EJPfPiS1_jEEvDpT3_
		.amdhsa_group_segment_fixed_size 2048
		.amdhsa_private_segment_fixed_size 0
		.amdhsa_kernarg_size 28
		.amdhsa_user_sgpr_count 15
		.amdhsa_user_sgpr_dispatch_ptr 0
		.amdhsa_user_sgpr_queue_ptr 0
		.amdhsa_user_sgpr_kernarg_segment_ptr 1
		.amdhsa_user_sgpr_dispatch_id 0
		.amdhsa_user_sgpr_private_segment_size 0
		.amdhsa_wavefront_size32 1
		.amdhsa_uses_dynamic_stack 0
		.amdhsa_enable_private_segment 0
		.amdhsa_system_sgpr_workgroup_id_x 1
		.amdhsa_system_sgpr_workgroup_id_y 0
		.amdhsa_system_sgpr_workgroup_id_z 0
		.amdhsa_system_sgpr_workgroup_info 0
		.amdhsa_system_vgpr_workitem_id 0
		.amdhsa_next_free_vgpr 12
		.amdhsa_next_free_sgpr 16
		.amdhsa_reserve_vcc 1
		.amdhsa_float_round_mode_32 0
		.amdhsa_float_round_mode_16_64 0
		.amdhsa_float_denorm_mode_32 3
		.amdhsa_float_denorm_mode_16_64 3
		.amdhsa_dx10_clamp 1
		.amdhsa_ieee_mode 1
		.amdhsa_fp16_overflow 0
		.amdhsa_workgroup_processor_mode 1
		.amdhsa_memory_ordered 1
		.amdhsa_forward_progress 0
		.amdhsa_shared_vgpr_count 0
		.amdhsa_exception_fp_ieee_invalid_op 0
		.amdhsa_exception_fp_denorm_src 0
		.amdhsa_exception_fp_ieee_div_zero 0
		.amdhsa_exception_fp_ieee_overflow 0
		.amdhsa_exception_fp_ieee_underflow 0
		.amdhsa_exception_fp_ieee_inexact 0
		.amdhsa_exception_int_div_zero 0
	.end_amdhsa_kernel
	.section	.text._Z6kernelI27subtract_right_partial_tileLj256ELj3ELb0EJPfPiS1_jEEvDpT3_,"axG",@progbits,_Z6kernelI27subtract_right_partial_tileLj256ELj3ELb0EJPfPiS1_jEEvDpT3_,comdat
.Lfunc_end187:
	.size	_Z6kernelI27subtract_right_partial_tileLj256ELj3ELb0EJPfPiS1_jEEvDpT3_, .Lfunc_end187-_Z6kernelI27subtract_right_partial_tileLj256ELj3ELb0EJPfPiS1_jEEvDpT3_
                                        ; -- End function
	.section	.AMDGPU.csdata,"",@progbits
; Kernel info:
; codeLenInByte = 504
; NumSgprs: 18
; NumVgprs: 12
; ScratchSize: 0
; MemoryBound: 0
; FloatMode: 240
; IeeeMode: 1
; LDSByteSize: 2048 bytes/workgroup (compile time only)
; SGPRBlocks: 2
; VGPRBlocks: 1
; NumSGPRsForWavesPerEU: 18
; NumVGPRsForWavesPerEU: 12
; Occupancy: 16
; WaveLimiterHint : 1
; COMPUTE_PGM_RSRC2:SCRATCH_EN: 0
; COMPUTE_PGM_RSRC2:USER_SGPR: 15
; COMPUTE_PGM_RSRC2:TRAP_HANDLER: 0
; COMPUTE_PGM_RSRC2:TGID_X_EN: 1
; COMPUTE_PGM_RSRC2:TGID_Y_EN: 0
; COMPUTE_PGM_RSRC2:TGID_Z_EN: 0
; COMPUTE_PGM_RSRC2:TIDIG_COMP_CNT: 0
	.section	.text._Z6kernelI27subtract_right_partial_tileLj256ELj4ELb0EJPfPiS1_jEEvDpT3_,"axG",@progbits,_Z6kernelI27subtract_right_partial_tileLj256ELj4ELb0EJPfPiS1_jEEvDpT3_,comdat
	.protected	_Z6kernelI27subtract_right_partial_tileLj256ELj4ELb0EJPfPiS1_jEEvDpT3_ ; -- Begin function _Z6kernelI27subtract_right_partial_tileLj256ELj4ELb0EJPfPiS1_jEEvDpT3_
	.globl	_Z6kernelI27subtract_right_partial_tileLj256ELj4ELb0EJPfPiS1_jEEvDpT3_
	.p2align	8
	.type	_Z6kernelI27subtract_right_partial_tileLj256ELj4ELb0EJPfPiS1_jEEvDpT3_,@function
_Z6kernelI27subtract_right_partial_tileLj256ELj4ELb0EJPfPiS1_jEEvDpT3_: ; @_Z6kernelI27subtract_right_partial_tileLj256ELj4ELb0EJPfPiS1_jEEvDpT3_
; %bb.0:
	s_clause 0x1
	s_load_b128 s[8:11], s[0:1], 0x0
	s_load_b64 s[4:5], s[0:1], 0x10
	s_mov_b32 s13, 0
	s_lshl_b32 s12, s15, 10
	v_lshlrev_b32_e32 v5, 2, v0
	s_lshl_b64 s[2:3], s[12:13], 2
	s_mov_b32 s6, s15
	s_mov_b32 s7, s13
	s_waitcnt lgkmcnt(0)
	s_add_u32 s8, s8, s2
	s_addc_u32 s9, s9, s3
	s_clause 0x3
	global_load_b32 v1, v5, s[8:9]
	global_load_b32 v2, v5, s[8:9] offset:1024
	global_load_b32 v3, v5, s[8:9] offset:2048
	global_load_b32 v4, v5, s[8:9] offset:3072
	s_load_b32 s8, s[0:1], 0x18
	s_lshl_b64 s[0:1], s[6:7], 2
	s_delay_alu instid0(SALU_CYCLE_1)
	s_add_u32 s0, s10, s0
	s_addc_u32 s1, s11, s1
	s_load_b32 s0, s[0:1], 0x0
	s_waitcnt lgkmcnt(0)
	v_cvt_f32_u32_e32 v6, s8
	s_sub_i32 s7, 0, s8
	s_delay_alu instid0(VALU_DEP_1)
	v_rcp_iflag_f32_e32 v6, v6
	s_waitcnt_depctr 0xfff
	v_mul_f32_e32 v6, 0x4f7ffffe, v6
	v_or_b32_e32 v7, 2, v5
	v_or_b32_e32 v8, 3, v5
	v_add_nc_u32_e32 v9, 4, v5
	v_or_b32_e32 v10, 0x400, v5
	v_cvt_u32_f32_e32 v6, v6
	s_delay_alu instid0(VALU_DEP_1) | instskip(SKIP_1) | instid1(VALU_DEP_2)
	v_readfirstlane_b32 s6, v6
	v_or_b32_e32 v6, 1, v5
	s_mul_i32 s7, s7, s6
	s_delay_alu instid0(SALU_CYCLE_1) | instskip(NEXT) | instid1(SALU_CYCLE_1)
	s_mul_hi_u32 s7, s6, s7
	s_add_i32 s6, s6, s7
	s_delay_alu instid0(SALU_CYCLE_1) | instskip(NEXT) | instid1(SALU_CYCLE_1)
	s_lshr_b32 s6, s6, 22
	s_mul_i32 s7, s6, s8
	s_delay_alu instid0(SALU_CYCLE_1)
	s_sub_i32 s1, 0x400, s7
	s_add_i32 s7, s6, 1
	s_sub_i32 s9, s1, s8
	s_cmp_ge_u32 s1, s8
	s_cselect_b32 s6, s7, s6
	s_cselect_b32 s1, s9, s1
	s_add_i32 s7, s6, 1
	s_cmp_ge_u32 s1, s8
	s_cselect_b32 s1, s7, s6
	s_max_u32 s6, s8, 1
	s_add_i32 s1, s1, 1
	s_set_inst_prefetch_distance 0x1
	s_branch .LBB188_2
	.p2align	6
.LBB188_1:                              ;   in Loop: Header=BB188_2 Depth=1
	s_or_b32 exec_lo, exec_lo, s7
	v_dual_add_f32 v1, v1, v11 :: v_dual_add_f32 v2, v2, v12
	s_delay_alu instid0(VALU_DEP_2)
	v_dual_add_f32 v3, v3, v13 :: v_dual_add_f32 v4, v4, v14
	s_add_i32 s0, s1, s0
	s_add_i32 s6, s6, -1
	s_and_b32 s0, s0, 0x3ff
	s_cmp_lg_u32 s6, 0
	s_barrier
	buffer_gl0_inv
	s_cbranch_scc0 .LBB188_4
.LBB188_2:                              ; =>This Inner Loop Header: Depth=1
	s_waitcnt vmcnt(1)
	v_dual_sub_f32 v11, v1, v2 :: v_dual_sub_f32 v12, v2, v3
	v_cmp_gt_u32_e32 vcc_lo, s0, v6
	s_waitcnt vmcnt(0)
	v_dual_sub_f32 v13, v3, v4 :: v_dual_mov_b32 v14, v4
	s_mov_b32 s7, exec_lo
	ds_store_b32 v5, v1 offset:1024
	v_cndmask_b32_e32 v11, v1, v11, vcc_lo
	v_cmp_gt_u32_e32 vcc_lo, s0, v7
	s_waitcnt lgkmcnt(0)
	s_barrier
	buffer_gl0_inv
	v_cndmask_b32_e32 v12, v2, v12, vcc_lo
	v_cmp_gt_u32_e32 vcc_lo, s0, v8
	v_cndmask_b32_e32 v13, v3, v13, vcc_lo
	v_cmpx_gt_u32_e64 s0, v9
	s_cbranch_execz .LBB188_1
; %bb.3:                                ;   in Loop: Header=BB188_2 Depth=1
	ds_load_b32 v14, v10 offset:4
	s_waitcnt lgkmcnt(0)
	v_sub_f32_e32 v14, v4, v14
	s_branch .LBB188_1
.LBB188_4:
	s_set_inst_prefetch_distance 0x2
	v_lshlrev_b32_e32 v0, 2, v0
	s_add_u32 s0, s4, s2
	s_addc_u32 s1, s5, s3
	s_clause 0x3
	global_store_b32 v0, v1, s[0:1]
	global_store_b32 v0, v2, s[0:1] offset:1024
	global_store_b32 v0, v3, s[0:1] offset:2048
	;; [unrolled: 1-line block ×3, first 2 shown]
	s_nop 0
	s_sendmsg sendmsg(MSG_DEALLOC_VGPRS)
	s_endpgm
	.section	.rodata,"a",@progbits
	.p2align	6, 0x0
	.amdhsa_kernel _Z6kernelI27subtract_right_partial_tileLj256ELj4ELb0EJPfPiS1_jEEvDpT3_
		.amdhsa_group_segment_fixed_size 2048
		.amdhsa_private_segment_fixed_size 0
		.amdhsa_kernarg_size 28
		.amdhsa_user_sgpr_count 15
		.amdhsa_user_sgpr_dispatch_ptr 0
		.amdhsa_user_sgpr_queue_ptr 0
		.amdhsa_user_sgpr_kernarg_segment_ptr 1
		.amdhsa_user_sgpr_dispatch_id 0
		.amdhsa_user_sgpr_private_segment_size 0
		.amdhsa_wavefront_size32 1
		.amdhsa_uses_dynamic_stack 0
		.amdhsa_enable_private_segment 0
		.amdhsa_system_sgpr_workgroup_id_x 1
		.amdhsa_system_sgpr_workgroup_id_y 0
		.amdhsa_system_sgpr_workgroup_id_z 0
		.amdhsa_system_sgpr_workgroup_info 0
		.amdhsa_system_vgpr_workitem_id 0
		.amdhsa_next_free_vgpr 15
		.amdhsa_next_free_sgpr 16
		.amdhsa_reserve_vcc 1
		.amdhsa_float_round_mode_32 0
		.amdhsa_float_round_mode_16_64 0
		.amdhsa_float_denorm_mode_32 3
		.amdhsa_float_denorm_mode_16_64 3
		.amdhsa_dx10_clamp 1
		.amdhsa_ieee_mode 1
		.amdhsa_fp16_overflow 0
		.amdhsa_workgroup_processor_mode 1
		.amdhsa_memory_ordered 1
		.amdhsa_forward_progress 0
		.amdhsa_shared_vgpr_count 0
		.amdhsa_exception_fp_ieee_invalid_op 0
		.amdhsa_exception_fp_denorm_src 0
		.amdhsa_exception_fp_ieee_div_zero 0
		.amdhsa_exception_fp_ieee_overflow 0
		.amdhsa_exception_fp_ieee_underflow 0
		.amdhsa_exception_fp_ieee_inexact 0
		.amdhsa_exception_int_div_zero 0
	.end_amdhsa_kernel
	.section	.text._Z6kernelI27subtract_right_partial_tileLj256ELj4ELb0EJPfPiS1_jEEvDpT3_,"axG",@progbits,_Z6kernelI27subtract_right_partial_tileLj256ELj4ELb0EJPfPiS1_jEEvDpT3_,comdat
.Lfunc_end188:
	.size	_Z6kernelI27subtract_right_partial_tileLj256ELj4ELb0EJPfPiS1_jEEvDpT3_, .Lfunc_end188-_Z6kernelI27subtract_right_partial_tileLj256ELj4ELb0EJPfPiS1_jEEvDpT3_
                                        ; -- End function
	.section	.AMDGPU.csdata,"",@progbits
; Kernel info:
; codeLenInByte = 512
; NumSgprs: 18
; NumVgprs: 15
; ScratchSize: 0
; MemoryBound: 0
; FloatMode: 240
; IeeeMode: 1
; LDSByteSize: 2048 bytes/workgroup (compile time only)
; SGPRBlocks: 2
; VGPRBlocks: 1
; NumSGPRsForWavesPerEU: 18
; NumVGPRsForWavesPerEU: 15
; Occupancy: 16
; WaveLimiterHint : 1
; COMPUTE_PGM_RSRC2:SCRATCH_EN: 0
; COMPUTE_PGM_RSRC2:USER_SGPR: 15
; COMPUTE_PGM_RSRC2:TRAP_HANDLER: 0
; COMPUTE_PGM_RSRC2:TGID_X_EN: 1
; COMPUTE_PGM_RSRC2:TGID_Y_EN: 0
; COMPUTE_PGM_RSRC2:TGID_Z_EN: 0
; COMPUTE_PGM_RSRC2:TIDIG_COMP_CNT: 0
	.section	.text._Z6kernelI27subtract_right_partial_tileLj256ELj8ELb0EJPfPiS1_jEEvDpT3_,"axG",@progbits,_Z6kernelI27subtract_right_partial_tileLj256ELj8ELb0EJPfPiS1_jEEvDpT3_,comdat
	.protected	_Z6kernelI27subtract_right_partial_tileLj256ELj8ELb0EJPfPiS1_jEEvDpT3_ ; -- Begin function _Z6kernelI27subtract_right_partial_tileLj256ELj8ELb0EJPfPiS1_jEEvDpT3_
	.globl	_Z6kernelI27subtract_right_partial_tileLj256ELj8ELb0EJPfPiS1_jEEvDpT3_
	.p2align	8
	.type	_Z6kernelI27subtract_right_partial_tileLj256ELj8ELb0EJPfPiS1_jEEvDpT3_,@function
_Z6kernelI27subtract_right_partial_tileLj256ELj8ELb0EJPfPiS1_jEEvDpT3_: ; @_Z6kernelI27subtract_right_partial_tileLj256ELj8ELb0EJPfPiS1_jEEvDpT3_
; %bb.0:
	s_clause 0x1
	s_load_b128 s[4:7], s[0:1], 0x0
	s_load_b64 s[8:9], s[0:1], 0x10
	s_mov_b32 s13, 0
	s_lshl_b32 s12, s15, 11
	v_lshlrev_b32_e32 v9, 2, v0
	s_lshl_b64 s[2:3], s[12:13], 2
	s_mov_b32 s10, s15
	v_lshlrev_b32_e32 v17, 3, v0
	s_delay_alu instid0(VALU_DEP_1)
	v_or_b32_e32 v12, 3, v17
	v_or_b32_e32 v13, 4, v17
	;; [unrolled: 1-line block ×5, first 2 shown]
	s_waitcnt lgkmcnt(0)
	s_add_u32 s4, s4, s2
	s_addc_u32 s5, s5, s3
	v_add_co_u32 v1, s11, s4, v9
	s_delay_alu instid0(VALU_DEP_1) | instskip(SKIP_1) | instid1(VALU_DEP_2)
	v_add_co_ci_u32_e64 v2, null, s5, 0, s11
	s_mov_b32 s11, s13
	v_add_co_u32 v10, vcc_lo, 0x1000, v1
	s_delay_alu instid0(VALU_DEP_2)
	v_add_co_ci_u32_e32 v11, vcc_lo, 0, v2, vcc_lo
	s_clause 0x7
	global_load_b32 v1, v9, s[4:5]
	global_load_b32 v2, v9, s[4:5] offset:1024
	global_load_b32 v3, v9, s[4:5] offset:2048
	global_load_b32 v4, v9, s[4:5] offset:3072
	global_load_b32 v5, v[10:11], off
	global_load_b32 v6, v[10:11], off offset:1024
	global_load_b32 v7, v[10:11], off offset:2048
	;; [unrolled: 1-line block ×3, first 2 shown]
	s_load_b32 s4, s[0:1], 0x18
	s_lshl_b64 s[0:1], s[10:11], 2
	v_or_b32_e32 v11, 2, v17
	s_add_u32 s0, s6, s0
	s_addc_u32 s1, s7, s1
	s_load_b32 s0, s[0:1], 0x0
	s_waitcnt lgkmcnt(0)
	v_cvt_f32_u32_e32 v10, s4
	s_sub_i32 s6, 0, s4
	s_delay_alu instid0(VALU_DEP_1) | instskip(SKIP_3) | instid1(VALU_DEP_2)
	v_rcp_iflag_f32_e32 v10, v10
	s_waitcnt_depctr 0xfff
	v_mul_f32_e32 v10, 0x4f7ffffe, v10
	v_or_b32_e32 v18, 0x400, v9
	v_cvt_u32_f32_e32 v10, v10
	s_delay_alu instid0(VALU_DEP_1) | instskip(SKIP_2) | instid1(VALU_DEP_3)
	v_readfirstlane_b32 s5, v10
	v_or_b32_e32 v10, 1, v17
	v_add_nc_u32_e32 v17, 8, v17
	s_mul_i32 s6, s6, s5
	s_delay_alu instid0(SALU_CYCLE_1) | instskip(NEXT) | instid1(SALU_CYCLE_1)
	s_mul_hi_u32 s6, s5, s6
	s_add_i32 s5, s5, s6
	s_delay_alu instid0(SALU_CYCLE_1) | instskip(NEXT) | instid1(SALU_CYCLE_1)
	s_lshr_b32 s5, s5, 21
	s_mul_i32 s6, s5, s4
	s_add_i32 s7, s5, 1
	s_sub_i32 s6, 0x800, s6
	s_delay_alu instid0(SALU_CYCLE_1)
	s_sub_i32 s10, s6, s4
	s_cmp_ge_u32 s6, s4
	s_cselect_b32 s1, s7, s5
	s_cselect_b32 s5, s10, s6
	s_add_i32 s6, s1, 1
	s_cmp_ge_u32 s5, s4
	s_cselect_b32 s1, s6, s1
	s_max_u32 s4, s4, 1
	s_add_i32 s1, s1, 1
	s_branch .LBB189_2
.LBB189_1:                              ;   in Loop: Header=BB189_2 Depth=1
	s_or_b32 exec_lo, exec_lo, s5
	v_dual_sub_f32 v20, v1, v2 :: v_dual_sub_f32 v21, v2, v3
	v_cmp_gt_u32_e32 vcc_lo, s0, v10
	v_dual_sub_f32 v24, v5, v6 :: v_dual_sub_f32 v25, v6, v7
	v_sub_f32_e32 v23, v4, v5
	s_add_i32 s4, s4, -1
	v_cndmask_b32_e32 v20, v1, v20, vcc_lo
	v_cmp_gt_u32_e32 vcc_lo, s0, v11
	v_sub_f32_e32 v22, v3, v4
	s_barrier
	buffer_gl0_inv
	v_cndmask_b32_e32 v21, v2, v21, vcc_lo
	v_cmp_gt_u32_e32 vcc_lo, s0, v12
	v_dual_add_f32 v1, v1, v20 :: v_dual_cndmask_b32 v22, v3, v22
	v_cmp_gt_u32_e32 vcc_lo, s0, v13
	v_cndmask_b32_e32 v23, v4, v23, vcc_lo
	v_cmp_gt_u32_e32 vcc_lo, s0, v14
	s_delay_alu instid0(VALU_DEP_4) | instskip(SKIP_3) | instid1(VALU_DEP_4)
	v_dual_add_f32 v3, v3, v22 :: v_dual_cndmask_b32 v24, v5, v24
	v_cmp_gt_u32_e32 vcc_lo, s0, v15
	v_sub_f32_e32 v26, v7, v8
	v_add_f32_e32 v2, v2, v21
	v_dual_add_f32 v8, v8, v19 :: v_dual_add_f32 v5, v5, v24
	v_cndmask_b32_e32 v25, v6, v25, vcc_lo
	v_cmp_gt_u32_e32 vcc_lo, s0, v16
	s_add_i32 s0, s1, s0
	s_delay_alu instid0(SALU_CYCLE_1) | instskip(NEXT) | instid1(VALU_DEP_2)
	s_and_b32 s0, s0, 0x7ff
	v_add_f32_e32 v6, v6, v25
	v_cndmask_b32_e32 v26, v7, v26, vcc_lo
	v_add_f32_e32 v4, v4, v23
	s_cmp_lg_u32 s4, 0
	s_delay_alu instid0(VALU_DEP_2)
	v_add_f32_e32 v7, v7, v26
	s_cbranch_scc0 .LBB189_4
.LBB189_2:                              ; =>This Inner Loop Header: Depth=1
	s_waitcnt vmcnt(0)
	v_mov_b32_e32 v19, v8
	s_mov_b32 s5, exec_lo
	ds_store_b32 v9, v1 offset:1024
	s_waitcnt lgkmcnt(0)
	s_barrier
	buffer_gl0_inv
	v_cmpx_gt_u32_e64 s0, v17
	s_cbranch_execz .LBB189_1
; %bb.3:                                ;   in Loop: Header=BB189_2 Depth=1
	ds_load_b32 v19, v18 offset:4
	s_waitcnt lgkmcnt(0)
	v_sub_f32_e32 v19, v8, v19
	s_branch .LBB189_1
.LBB189_4:
	v_lshlrev_b32_e32 v0, 2, v0
	s_add_u32 s0, s8, s2
	s_addc_u32 s1, s9, s3
	s_delay_alu instid0(VALU_DEP_1) | instskip(NEXT) | instid1(VALU_DEP_1)
	v_add_co_u32 v9, s2, s0, v0
	v_add_co_ci_u32_e64 v10, null, s1, 0, s2
	s_delay_alu instid0(VALU_DEP_2) | instskip(NEXT) | instid1(VALU_DEP_2)
	v_add_co_u32 v9, vcc_lo, 0x1000, v9
	v_add_co_ci_u32_e32 v10, vcc_lo, 0, v10, vcc_lo
	s_clause 0x7
	global_store_b32 v0, v1, s[0:1]
	global_store_b32 v0, v2, s[0:1] offset:1024
	global_store_b32 v0, v3, s[0:1] offset:2048
	;; [unrolled: 1-line block ×3, first 2 shown]
	global_store_b32 v[9:10], v5, off
	global_store_b32 v[9:10], v6, off offset:1024
	global_store_b32 v[9:10], v7, off offset:2048
	;; [unrolled: 1-line block ×3, first 2 shown]
	s_nop 0
	s_sendmsg sendmsg(MSG_DEALLOC_VGPRS)
	s_endpgm
	.section	.rodata,"a",@progbits
	.p2align	6, 0x0
	.amdhsa_kernel _Z6kernelI27subtract_right_partial_tileLj256ELj8ELb0EJPfPiS1_jEEvDpT3_
		.amdhsa_group_segment_fixed_size 2048
		.amdhsa_private_segment_fixed_size 0
		.amdhsa_kernarg_size 28
		.amdhsa_user_sgpr_count 15
		.amdhsa_user_sgpr_dispatch_ptr 0
		.amdhsa_user_sgpr_queue_ptr 0
		.amdhsa_user_sgpr_kernarg_segment_ptr 1
		.amdhsa_user_sgpr_dispatch_id 0
		.amdhsa_user_sgpr_private_segment_size 0
		.amdhsa_wavefront_size32 1
		.amdhsa_uses_dynamic_stack 0
		.amdhsa_enable_private_segment 0
		.amdhsa_system_sgpr_workgroup_id_x 1
		.amdhsa_system_sgpr_workgroup_id_y 0
		.amdhsa_system_sgpr_workgroup_id_z 0
		.amdhsa_system_sgpr_workgroup_info 0
		.amdhsa_system_vgpr_workitem_id 0
		.amdhsa_next_free_vgpr 27
		.amdhsa_next_free_sgpr 16
		.amdhsa_reserve_vcc 1
		.amdhsa_float_round_mode_32 0
		.amdhsa_float_round_mode_16_64 0
		.amdhsa_float_denorm_mode_32 3
		.amdhsa_float_denorm_mode_16_64 3
		.amdhsa_dx10_clamp 1
		.amdhsa_ieee_mode 1
		.amdhsa_fp16_overflow 0
		.amdhsa_workgroup_processor_mode 1
		.amdhsa_memory_ordered 1
		.amdhsa_forward_progress 0
		.amdhsa_shared_vgpr_count 0
		.amdhsa_exception_fp_ieee_invalid_op 0
		.amdhsa_exception_fp_denorm_src 0
		.amdhsa_exception_fp_ieee_div_zero 0
		.amdhsa_exception_fp_ieee_overflow 0
		.amdhsa_exception_fp_ieee_underflow 0
		.amdhsa_exception_fp_ieee_inexact 0
		.amdhsa_exception_int_div_zero 0
	.end_amdhsa_kernel
	.section	.text._Z6kernelI27subtract_right_partial_tileLj256ELj8ELb0EJPfPiS1_jEEvDpT3_,"axG",@progbits,_Z6kernelI27subtract_right_partial_tileLj256ELj8ELb0EJPfPiS1_jEEvDpT3_,comdat
.Lfunc_end189:
	.size	_Z6kernelI27subtract_right_partial_tileLj256ELj8ELb0EJPfPiS1_jEEvDpT3_, .Lfunc_end189-_Z6kernelI27subtract_right_partial_tileLj256ELj8ELb0EJPfPiS1_jEEvDpT3_
                                        ; -- End function
	.section	.AMDGPU.csdata,"",@progbits
; Kernel info:
; codeLenInByte = 736
; NumSgprs: 18
; NumVgprs: 27
; ScratchSize: 0
; MemoryBound: 0
; FloatMode: 240
; IeeeMode: 1
; LDSByteSize: 2048 bytes/workgroup (compile time only)
; SGPRBlocks: 2
; VGPRBlocks: 3
; NumSGPRsForWavesPerEU: 18
; NumVGPRsForWavesPerEU: 27
; Occupancy: 16
; WaveLimiterHint : 1
; COMPUTE_PGM_RSRC2:SCRATCH_EN: 0
; COMPUTE_PGM_RSRC2:USER_SGPR: 15
; COMPUTE_PGM_RSRC2:TRAP_HANDLER: 0
; COMPUTE_PGM_RSRC2:TGID_X_EN: 1
; COMPUTE_PGM_RSRC2:TGID_Y_EN: 0
; COMPUTE_PGM_RSRC2:TGID_Z_EN: 0
; COMPUTE_PGM_RSRC2:TIDIG_COMP_CNT: 0
	.section	.text._Z6kernelI27subtract_right_partial_tileLj256ELj16ELb0EJPfPiS1_jEEvDpT3_,"axG",@progbits,_Z6kernelI27subtract_right_partial_tileLj256ELj16ELb0EJPfPiS1_jEEvDpT3_,comdat
	.protected	_Z6kernelI27subtract_right_partial_tileLj256ELj16ELb0EJPfPiS1_jEEvDpT3_ ; -- Begin function _Z6kernelI27subtract_right_partial_tileLj256ELj16ELb0EJPfPiS1_jEEvDpT3_
	.globl	_Z6kernelI27subtract_right_partial_tileLj256ELj16ELb0EJPfPiS1_jEEvDpT3_
	.p2align	8
	.type	_Z6kernelI27subtract_right_partial_tileLj256ELj16ELb0EJPfPiS1_jEEvDpT3_,@function
_Z6kernelI27subtract_right_partial_tileLj256ELj16ELb0EJPfPiS1_jEEvDpT3_: ; @_Z6kernelI27subtract_right_partial_tileLj256ELj16ELb0EJPfPiS1_jEEvDpT3_
; %bb.0:
	s_clause 0x1
	s_load_b128 s[4:7], s[0:1], 0x0
	s_load_b64 s[8:9], s[0:1], 0x10
	s_mov_b32 s13, 0
	s_lshl_b32 s12, s15, 12
	v_lshlrev_b32_e32 v17, 2, v0
	s_lshl_b64 s[2:3], s[12:13], 2
	s_mov_b32 s10, s15
	v_lshlrev_b32_e32 v33, 4, v0
	s_delay_alu instid0(VALU_DEP_1)
	v_or_b32_e32 v22, 5, v33
	v_or_b32_e32 v23, 6, v33
	;; [unrolled: 1-line block ×8, first 2 shown]
	s_waitcnt lgkmcnt(0)
	s_add_u32 s4, s4, s2
	s_addc_u32 s5, s5, s3
	v_add_co_u32 v10, s11, s4, v17
	s_delay_alu instid0(VALU_DEP_1)
	v_add_co_ci_u32_e64 v11, null, s5, 0, s11
	s_clause 0x3
	global_load_b32 v4, v17, s[4:5]
	global_load_b32 v3, v17, s[4:5] offset:1024
	global_load_b32 v2, v17, s[4:5] offset:2048
	;; [unrolled: 1-line block ×3, first 2 shown]
	v_add_co_u32 v6, vcc_lo, 0x1000, v10
	v_add_co_ci_u32_e32 v7, vcc_lo, 0, v11, vcc_lo
	v_add_co_u32 v8, vcc_lo, v10, 0x2000
	v_add_co_ci_u32_e32 v9, vcc_lo, 0, v11, vcc_lo
	;; [unrolled: 2-line block ×3, first 2 shown]
	v_add_co_u32 v20, vcc_lo, 0x3000, v10
	s_clause 0x1
	global_load_b32 v5, v[8:9], off offset:-4096
	global_load_b32 v16, v[8:9], off
	v_add_co_ci_u32_e32 v21, vcc_lo, 0, v11, vcc_lo
	s_clause 0x9
	global_load_b32 v15, v[6:7], off offset:1024
	global_load_b32 v14, v[6:7], off offset:2048
	;; [unrolled: 1-line block ×6, first 2 shown]
	global_load_b32 v9, v[20:21], off
	global_load_b32 v8, v[20:21], off offset:1024
	global_load_b32 v7, v[20:21], off offset:2048
	global_load_b32 v6, v[20:21], off offset:3072
	s_load_b32 s4, s[0:1], 0x18
	s_mov_b32 s11, s13
	v_or_b32_e32 v19, 2, v33
	s_lshl_b64 s[0:1], s[10:11], 2
	v_or_b32_e32 v20, 3, v33
	s_add_u32 s0, s6, s0
	s_addc_u32 s1, s7, s1
	v_or_b32_e32 v21, 4, v33
	s_load_b32 s0, s[0:1], 0x0
	v_or_b32_e32 v30, 13, v33
	v_or_b32_e32 v31, 14, v33
	;; [unrolled: 1-line block ×3, first 2 shown]
	s_waitcnt lgkmcnt(0)
	v_cvt_f32_u32_e32 v18, s4
	s_sub_i32 s6, 0, s4
	s_delay_alu instid0(VALU_DEP_1) | instskip(SKIP_3) | instid1(VALU_DEP_2)
	v_rcp_iflag_f32_e32 v18, v18
	s_waitcnt_depctr 0xfff
	v_mul_f32_e32 v18, 0x4f7ffffe, v18
	v_or_b32_e32 v34, 0x400, v17
	v_cvt_u32_f32_e32 v18, v18
	s_delay_alu instid0(VALU_DEP_1) | instskip(SKIP_2) | instid1(VALU_DEP_3)
	v_readfirstlane_b32 s5, v18
	v_or_b32_e32 v18, 1, v33
	v_add_nc_u32_e32 v33, 16, v33
	s_mul_i32 s6, s6, s5
	s_delay_alu instid0(SALU_CYCLE_1) | instskip(NEXT) | instid1(SALU_CYCLE_1)
	s_mul_hi_u32 s6, s5, s6
	s_add_i32 s5, s5, s6
	s_delay_alu instid0(SALU_CYCLE_1) | instskip(NEXT) | instid1(SALU_CYCLE_1)
	s_lshr_b32 s5, s5, 20
	s_mul_i32 s6, s5, s4
	s_add_i32 s7, s5, 1
	s_sub_i32 s6, 0x1000, s6
	s_delay_alu instid0(SALU_CYCLE_1)
	s_sub_i32 s10, s6, s4
	s_cmp_ge_u32 s6, s4
	s_cselect_b32 s5, s7, s5
	s_cselect_b32 s6, s10, s6
	s_add_i32 s7, s5, 1
	s_cmp_ge_u32 s6, s4
	s_cselect_b32 s1, s7, s5
	s_max_u32 s4, s4, 1
	s_add_i32 s1, s1, 1
	s_branch .LBB190_2
.LBB190_1:                              ;   in Loop: Header=BB190_2 Depth=1
	s_or_b32 exec_lo, exec_lo, s5
	v_dual_sub_f32 v36, v4, v3 :: v_dual_sub_f32 v37, v3, v2
	v_cmp_gt_u32_e32 vcc_lo, s0, v18
	v_dual_sub_f32 v40, v5, v15 :: v_dual_sub_f32 v41, v15, v14
	v_dual_sub_f32 v42, v14, v13 :: v_dual_sub_f32 v43, v13, v16
	s_delay_alu instid0(VALU_DEP_4)
	v_cndmask_b32_e32 v36, v4, v36, vcc_lo
	v_cmp_gt_u32_e32 vcc_lo, s0, v19
	v_dual_sub_f32 v44, v16, v12 :: v_dual_sub_f32 v47, v10, v9
	v_dual_sub_f32 v45, v12, v11 :: v_dual_sub_f32 v46, v11, v10
	v_cndmask_b32_e32 v37, v3, v37, vcc_lo
	v_cmp_gt_u32_e32 vcc_lo, s0, v20
	v_sub_f32_e32 v39, v1, v5
	v_sub_f32_e32 v38, v2, v1
	v_dual_sub_f32 v48, v9, v8 :: v_dual_sub_f32 v49, v8, v7
	s_add_i32 s4, s4, -1
	s_delay_alu instid0(VALU_DEP_2)
	v_cndmask_b32_e32 v38, v2, v38, vcc_lo
	v_cmp_gt_u32_e32 vcc_lo, s0, v21
	s_barrier
	buffer_gl0_inv
	v_add_f32_e32 v3, v3, v37
	v_cndmask_b32_e32 v39, v1, v39, vcc_lo
	v_cmp_gt_u32_e32 vcc_lo, s0, v22
	s_delay_alu instid0(VALU_DEP_2)
	v_add_f32_e32 v1, v1, v39
	v_cndmask_b32_e32 v40, v5, v40, vcc_lo
	v_cmp_gt_u32_e32 vcc_lo, s0, v23
	v_cndmask_b32_e32 v41, v15, v41, vcc_lo
	v_cmp_gt_u32_e32 vcc_lo, s0, v24
	v_add_f32_e32 v4, v4, v36
	v_dual_add_f32 v2, v2, v38 :: v_dual_add_f32 v5, v5, v40
	s_delay_alu instid0(VALU_DEP_4) | instskip(SKIP_3) | instid1(VALU_DEP_2)
	v_dual_add_f32 v15, v15, v41 :: v_dual_cndmask_b32 v42, v14, v42
	v_cmp_gt_u32_e32 vcc_lo, s0, v25
	v_cndmask_b32_e32 v43, v13, v43, vcc_lo
	v_cmp_gt_u32_e32 vcc_lo, s0, v26
	v_dual_add_f32 v14, v14, v42 :: v_dual_add_f32 v13, v13, v43
	v_cndmask_b32_e32 v44, v16, v44, vcc_lo
	v_cmp_gt_u32_e32 vcc_lo, s0, v27
	v_cndmask_b32_e32 v45, v12, v45, vcc_lo
	v_cmp_gt_u32_e32 vcc_lo, s0, v28
	;; [unrolled: 2-line block ×3, first 2 shown]
	s_delay_alu instid0(VALU_DEP_2)
	v_add_f32_e32 v11, v11, v46
	v_cndmask_b32_e32 v47, v10, v47, vcc_lo
	v_cmp_gt_u32_e32 vcc_lo, s0, v30
	v_add_f32_e32 v16, v16, v44
	v_cndmask_b32_e32 v48, v9, v48, vcc_lo
	v_cmp_gt_u32_e32 vcc_lo, s0, v31
	v_sub_f32_e32 v50, v7, v6
	v_add_f32_e32 v12, v12, v45
	s_delay_alu instid0(VALU_DEP_4) | instskip(SKIP_3) | instid1(SALU_CYCLE_1)
	v_dual_add_f32 v6, v6, v35 :: v_dual_add_f32 v9, v9, v48
	v_cndmask_b32_e32 v49, v8, v49, vcc_lo
	v_cmp_gt_u32_e32 vcc_lo, s0, v32
	s_add_i32 s0, s1, s0
	s_and_b32 s0, s0, 0xfff
	s_delay_alu instid0(VALU_DEP_2) | instskip(SKIP_3) | instid1(VALU_DEP_2)
	v_add_f32_e32 v8, v8, v49
	v_cndmask_b32_e32 v50, v7, v50, vcc_lo
	v_add_f32_e32 v10, v10, v47
	s_cmp_lg_u32 s4, 0
	v_add_f32_e32 v7, v7, v50
	s_cbranch_scc0 .LBB190_4
.LBB190_2:                              ; =>This Inner Loop Header: Depth=1
	s_waitcnt vmcnt(0)
	v_mov_b32_e32 v35, v6
	s_mov_b32 s5, exec_lo
	ds_store_b32 v17, v4 offset:1024
	s_waitcnt lgkmcnt(0)
	s_barrier
	buffer_gl0_inv
	v_cmpx_gt_u32_e64 s0, v33
	s_cbranch_execz .LBB190_1
; %bb.3:                                ;   in Loop: Header=BB190_2 Depth=1
	ds_load_b32 v35, v34 offset:4
	s_waitcnt lgkmcnt(0)
	v_sub_f32_e32 v35, v6, v35
	s_branch .LBB190_1
.LBB190_4:
	v_lshlrev_b32_e32 v0, 2, v0
	s_add_u32 s0, s8, s2
	s_addc_u32 s1, s9, s3
	s_delay_alu instid0(VALU_DEP_1) | instskip(NEXT) | instid1(VALU_DEP_1)
	v_add_co_u32 v23, s2, s0, v0
	v_add_co_ci_u32_e64 v24, null, s1, 0, s2
	s_delay_alu instid0(VALU_DEP_2) | instskip(NEXT) | instid1(VALU_DEP_2)
	v_add_co_u32 v17, vcc_lo, 0x1000, v23
	v_add_co_ci_u32_e32 v18, vcc_lo, 0, v24, vcc_lo
	v_add_co_u32 v19, vcc_lo, v23, 0x2000
	v_add_co_ci_u32_e32 v20, vcc_lo, 0, v24, vcc_lo
	;; [unrolled: 2-line block ×3, first 2 shown]
	v_add_co_u32 v23, vcc_lo, 0x3000, v23
	global_store_b32 v[19:20], v16, off
	v_add_co_ci_u32_e32 v24, vcc_lo, 0, v24, vcc_lo
	s_clause 0xe
	global_store_b32 v0, v4, s[0:1]
	global_store_b32 v0, v3, s[0:1] offset:1024
	global_store_b32 v0, v2, s[0:1] offset:2048
	;; [unrolled: 1-line block ×3, first 2 shown]
	global_store_b32 v[17:18], v15, off offset:1024
	global_store_b32 v[17:18], v14, off offset:2048
	;; [unrolled: 1-line block ×6, first 2 shown]
	global_store_b32 v[23:24], v9, off
	global_store_b32 v[23:24], v8, off offset:1024
	global_store_b32 v[23:24], v7, off offset:2048
	global_store_b32 v[19:20], v5, off offset:-4096
	global_store_b32 v[23:24], v6, off offset:3072
	s_nop 0
	s_sendmsg sendmsg(MSG_DEALLOC_VGPRS)
	s_endpgm
	.section	.rodata,"a",@progbits
	.p2align	6, 0x0
	.amdhsa_kernel _Z6kernelI27subtract_right_partial_tileLj256ELj16ELb0EJPfPiS1_jEEvDpT3_
		.amdhsa_group_segment_fixed_size 2048
		.amdhsa_private_segment_fixed_size 0
		.amdhsa_kernarg_size 28
		.amdhsa_user_sgpr_count 15
		.amdhsa_user_sgpr_dispatch_ptr 0
		.amdhsa_user_sgpr_queue_ptr 0
		.amdhsa_user_sgpr_kernarg_segment_ptr 1
		.amdhsa_user_sgpr_dispatch_id 0
		.amdhsa_user_sgpr_private_segment_size 0
		.amdhsa_wavefront_size32 1
		.amdhsa_uses_dynamic_stack 0
		.amdhsa_enable_private_segment 0
		.amdhsa_system_sgpr_workgroup_id_x 1
		.amdhsa_system_sgpr_workgroup_id_y 0
		.amdhsa_system_sgpr_workgroup_id_z 0
		.amdhsa_system_sgpr_workgroup_info 0
		.amdhsa_system_vgpr_workitem_id 0
		.amdhsa_next_free_vgpr 51
		.amdhsa_next_free_sgpr 16
		.amdhsa_reserve_vcc 1
		.amdhsa_float_round_mode_32 0
		.amdhsa_float_round_mode_16_64 0
		.amdhsa_float_denorm_mode_32 3
		.amdhsa_float_denorm_mode_16_64 3
		.amdhsa_dx10_clamp 1
		.amdhsa_ieee_mode 1
		.amdhsa_fp16_overflow 0
		.amdhsa_workgroup_processor_mode 1
		.amdhsa_memory_ordered 1
		.amdhsa_forward_progress 0
		.amdhsa_shared_vgpr_count 0
		.amdhsa_exception_fp_ieee_invalid_op 0
		.amdhsa_exception_fp_denorm_src 0
		.amdhsa_exception_fp_ieee_div_zero 0
		.amdhsa_exception_fp_ieee_overflow 0
		.amdhsa_exception_fp_ieee_underflow 0
		.amdhsa_exception_fp_ieee_inexact 0
		.amdhsa_exception_int_div_zero 0
	.end_amdhsa_kernel
	.section	.text._Z6kernelI27subtract_right_partial_tileLj256ELj16ELb0EJPfPiS1_jEEvDpT3_,"axG",@progbits,_Z6kernelI27subtract_right_partial_tileLj256ELj16ELb0EJPfPiS1_jEEvDpT3_,comdat
.Lfunc_end190:
	.size	_Z6kernelI27subtract_right_partial_tileLj256ELj16ELb0EJPfPiS1_jEEvDpT3_, .Lfunc_end190-_Z6kernelI27subtract_right_partial_tileLj256ELj16ELb0EJPfPiS1_jEEvDpT3_
                                        ; -- End function
	.section	.AMDGPU.csdata,"",@progbits
; Kernel info:
; codeLenInByte = 1140
; NumSgprs: 18
; NumVgprs: 51
; ScratchSize: 0
; MemoryBound: 0
; FloatMode: 240
; IeeeMode: 1
; LDSByteSize: 2048 bytes/workgroup (compile time only)
; SGPRBlocks: 2
; VGPRBlocks: 6
; NumSGPRsForWavesPerEU: 18
; NumVGPRsForWavesPerEU: 51
; Occupancy: 16
; WaveLimiterHint : 1
; COMPUTE_PGM_RSRC2:SCRATCH_EN: 0
; COMPUTE_PGM_RSRC2:USER_SGPR: 15
; COMPUTE_PGM_RSRC2:TRAP_HANDLER: 0
; COMPUTE_PGM_RSRC2:TGID_X_EN: 1
; COMPUTE_PGM_RSRC2:TGID_Y_EN: 0
; COMPUTE_PGM_RSRC2:TGID_Z_EN: 0
; COMPUTE_PGM_RSRC2:TIDIG_COMP_CNT: 0
	.section	.text._Z6kernelI27subtract_right_partial_tileLj256ELj32ELb0EJPfPiS1_jEEvDpT3_,"axG",@progbits,_Z6kernelI27subtract_right_partial_tileLj256ELj32ELb0EJPfPiS1_jEEvDpT3_,comdat
	.protected	_Z6kernelI27subtract_right_partial_tileLj256ELj32ELb0EJPfPiS1_jEEvDpT3_ ; -- Begin function _Z6kernelI27subtract_right_partial_tileLj256ELj32ELb0EJPfPiS1_jEEvDpT3_
	.globl	_Z6kernelI27subtract_right_partial_tileLj256ELj32ELb0EJPfPiS1_jEEvDpT3_
	.p2align	8
	.type	_Z6kernelI27subtract_right_partial_tileLj256ELj32ELb0EJPfPiS1_jEEvDpT3_,@function
_Z6kernelI27subtract_right_partial_tileLj256ELj32ELb0EJPfPiS1_jEEvDpT3_: ; @_Z6kernelI27subtract_right_partial_tileLj256ELj32ELb0EJPfPiS1_jEEvDpT3_
; %bb.0:
	s_clause 0x1
	s_load_b128 s[4:7], s[0:1], 0x0
	s_load_b64 s[8:9], s[0:1], 0x10
	s_mov_b32 s13, 0
	s_lshl_b32 s12, s15, 13
	v_lshlrev_b32_e32 v25, 2, v0
	s_lshl_b64 s[2:3], s[12:13], 2
	s_mov_b32 s10, s15
	v_lshlrev_b32_e32 v65, 5, v0
	s_delay_alu instid0(VALU_DEP_1)
	v_or_b32_e32 v38, 5, v65
	v_or_b32_e32 v39, 6, v65
	;; [unrolled: 1-line block ×8, first 2 shown]
	s_waitcnt lgkmcnt(0)
	s_add_u32 s4, s4, s2
	s_addc_u32 s5, s5, s3
	v_add_co_u32 v30, s11, s4, v25
	s_delay_alu instid0(VALU_DEP_1)
	v_add_co_ci_u32_e64 v31, null, s5, 0, s11
	s_clause 0x3
	global_load_b32 v5, v25, s[4:5]
	global_load_b32 v4, v25, s[4:5] offset:1024
	global_load_b32 v3, v25, s[4:5] offset:2048
	;; [unrolled: 1-line block ×3, first 2 shown]
	v_add_co_u32 v6, vcc_lo, 0x1000, v30
	v_add_co_ci_u32_e32 v7, vcc_lo, 0, v31, vcc_lo
	v_add_co_u32 v10, vcc_lo, v30, 0x2000
	v_add_co_ci_u32_e32 v11, vcc_lo, 0, v31, vcc_lo
	;; [unrolled: 2-line block ×9, first 2 shown]
	v_add_co_u32 v36, vcc_lo, 0x7000, v30
	s_clause 0xd
	global_load_b32 v29, v[6:7], off offset:1024
	global_load_b32 v28, v[6:7], off offset:2048
	;; [unrolled: 1-line block ×8, first 2 shown]
	global_load_b32 v1, v[10:11], off offset:-4096
	global_load_b32 v14, v[10:11], off
	global_load_b32 v13, v[17:18], off offset:-4096
	global_load_b32 v12, v[17:18], off
	;; [unrolled: 2-line block ×3, first 2 shown]
	v_add_co_ci_u32_e32 v37, vcc_lo, 0, v31, vcc_lo
	s_clause 0xd
	global_load_b32 v33, v[15:16], off offset:3072
	global_load_b32 v32, v[19:20], off offset:1024
	;; [unrolled: 1-line block ×10, first 2 shown]
	global_load_b32 v18, v[36:37], off
	global_load_b32 v17, v[36:37], off offset:1024
	global_load_b32 v16, v[36:37], off offset:2048
	;; [unrolled: 1-line block ×3, first 2 shown]
	s_load_b32 s4, s[0:1], 0x18
	s_mov_b32 s11, s13
	v_or_b32_e32 v35, 2, v65
	s_lshl_b64 s[0:1], s[10:11], 2
	v_or_b32_e32 v36, 3, v65
	s_add_u32 s0, s6, s0
	s_addc_u32 s1, s7, s1
	v_or_b32_e32 v37, 4, v65
	s_load_b32 s0, s[0:1], 0x0
	v_or_b32_e32 v46, 13, v65
	v_or_b32_e32 v47, 14, v65
	;; [unrolled: 1-line block ×11, first 2 shown]
	s_waitcnt lgkmcnt(0)
	v_cvt_f32_u32_e32 v34, s4
	s_sub_i32 s6, 0, s4
	v_or_b32_e32 v57, 24, v65
	v_or_b32_e32 v58, 25, v65
	;; [unrolled: 1-line block ×3, first 2 shown]
	v_rcp_iflag_f32_e32 v34, v34
	v_or_b32_e32 v60, 27, v65
	v_or_b32_e32 v61, 28, v65
	;; [unrolled: 1-line block ×5, first 2 shown]
	s_waitcnt_depctr 0xfff
	v_mul_f32_e32 v34, 0x4f7ffffe, v34
	v_or_b32_e32 v66, 0x400, v25
	s_delay_alu instid0(VALU_DEP_2) | instskip(NEXT) | instid1(VALU_DEP_1)
	v_cvt_u32_f32_e32 v34, v34
	v_readfirstlane_b32 s5, v34
	v_or_b32_e32 v34, 1, v65
	v_add_nc_u32_e32 v65, 32, v65
	s_delay_alu instid0(VALU_DEP_3) | instskip(NEXT) | instid1(SALU_CYCLE_1)
	s_mul_i32 s6, s6, s5
	s_mul_hi_u32 s6, s5, s6
	s_delay_alu instid0(SALU_CYCLE_1) | instskip(NEXT) | instid1(SALU_CYCLE_1)
	s_add_i32 s5, s5, s6
	s_lshr_b32 s5, s5, 19
	s_delay_alu instid0(SALU_CYCLE_1) | instskip(SKIP_2) | instid1(SALU_CYCLE_1)
	s_mul_i32 s6, s5, s4
	s_add_i32 s7, s5, 1
	s_sub_i32 s6, 0x2000, s6
	s_sub_i32 s10, s6, s4
	s_cmp_ge_u32 s6, s4
	s_cselect_b32 s5, s7, s5
	s_cselect_b32 s6, s10, s6
	s_add_i32 s7, s5, 1
	s_cmp_ge_u32 s6, s4
	s_cselect_b32 s1, s7, s5
	s_max_u32 s4, s4, 1
	s_add_i32 s1, s1, 1
	s_branch .LBB191_2
.LBB191_1:                              ;   in Loop: Header=BB191_2 Depth=1
	s_or_b32 exec_lo, exec_lo, s5
	v_dual_sub_f32 v68, v5, v4 :: v_dual_sub_f32 v69, v4, v3
	v_cmp_gt_u32_e32 vcc_lo, s0, v34
	v_dual_sub_f32 v81, v9, v8 :: v_dual_sub_f32 v82, v8, v33
	v_sub_f32_e32 v71, v2, v1
	s_add_i32 s4, s4, -1
	v_cndmask_b32_e32 v68, v5, v68, vcc_lo
	v_cmp_gt_u32_e32 vcc_lo, s0, v35
	v_sub_f32_e32 v70, v3, v2
	s_barrier
	buffer_gl0_inv
	v_cndmask_b32_e32 v69, v4, v69, vcc_lo
	v_cmp_gt_u32_e32 vcc_lo, s0, v36
	v_sub_f32_e32 v73, v29, v28
	v_sub_f32_e32 v75, v27, v14
	;; [unrolled: 1-line block ×3, first 2 shown]
	v_dual_sub_f32 v85, v32, v31 :: v_dual_cndmask_b32 v70, v3, v70
	v_cmp_gt_u32_e32 vcc_lo, s0, v37
	v_sub_f32_e32 v72, v1, v29
	v_dual_add_f32 v4, v4, v69 :: v_dual_sub_f32 v87, v30, v11
	s_delay_alu instid0(VALU_DEP_4)
	v_add_f32_e32 v3, v3, v70
	v_cndmask_b32_e32 v71, v2, v71, vcc_lo
	v_cmp_gt_u32_e32 vcc_lo, s0, v38
	v_dual_add_f32 v5, v5, v68 :: v_dual_sub_f32 v68, v24, v23
	v_dual_sub_f32 v69, v23, v22 :: v_dual_cndmask_b32 v72, v1, v72
	v_cmp_gt_u32_e32 vcc_lo, s0, v39
	v_sub_f32_e32 v74, v28, v27
	s_delay_alu instid0(VALU_DEP_3) | instskip(SKIP_4) | instid1(VALU_DEP_4)
	v_dual_sub_f32 v70, v22, v10 :: v_dual_add_f32 v1, v1, v72
	v_cndmask_b32_e32 v73, v29, v73, vcc_lo
	v_cmp_gt_u32_e32 vcc_lo, s0, v40
	v_add_f32_e32 v2, v2, v71
	v_sub_f32_e32 v71, v10, v21
	v_dual_add_f32 v29, v29, v73 :: v_dual_cndmask_b32 v74, v28, v74
	v_cmp_gt_u32_e32 vcc_lo, s0, v41
	v_dual_sub_f32 v76, v14, v26 :: v_dual_sub_f32 v73, v20, v19
	v_cndmask_b32_e32 v75, v27, v75, vcc_lo
	v_cmp_gt_u32_e32 vcc_lo, s0, v42
	v_add_f32_e32 v28, v28, v74
	v_sub_f32_e32 v74, v19, v18
	s_delay_alu instid0(VALU_DEP_4)
	v_add_f32_e32 v27, v27, v75
	v_sub_f32_e32 v75, v18, v17
	v_cndmask_b32_e32 v76, v14, v76, vcc_lo
	v_cmp_gt_u32_e32 vcc_lo, s0, v43
	v_dual_sub_f32 v78, v7, v6 :: v_dual_cndmask_b32 v77, v26, v77
	v_cmp_gt_u32_e32 vcc_lo, s0, v44
	s_delay_alu instid0(VALU_DEP_2) | instskip(SKIP_3) | instid1(VALU_DEP_4)
	v_dual_sub_f32 v79, v6, v13 :: v_dual_cndmask_b32 v78, v7, v78
	v_cmp_gt_u32_e32 vcc_lo, s0, v45
	v_sub_f32_e32 v80, v13, v9
	v_dual_add_f32 v26, v26, v77 :: v_dual_sub_f32 v77, v16, v15
	v_add_f32_e32 v7, v7, v78
	v_cndmask_b32_e32 v79, v6, v79, vcc_lo
	v_cmp_gt_u32_e32 vcc_lo, s0, v46
	v_dual_add_f32 v15, v15, v67 :: v_dual_cndmask_b32 v80, v13, v80
	v_cmp_gt_u32_e32 vcc_lo, s0, v47
	s_delay_alu instid0(VALU_DEP_2) | instskip(SKIP_4) | instid1(VALU_DEP_4)
	v_dual_add_f32 v6, v6, v79 :: v_dual_add_f32 v13, v13, v80
	v_cndmask_b32_e32 v81, v9, v81, vcc_lo
	v_cmp_gt_u32_e32 vcc_lo, s0, v48
	v_dual_sub_f32 v83, v33, v12 :: v_dual_cndmask_b32 v82, v8, v82
	v_cmp_gt_u32_e32 vcc_lo, s0, v49
	v_dual_sub_f32 v84, v12, v32 :: v_dual_add_f32 v9, v9, v81
	s_delay_alu instid0(VALU_DEP_3) | instskip(SKIP_1) | instid1(VALU_DEP_3)
	v_dual_add_f32 v8, v8, v82 :: v_dual_cndmask_b32 v83, v33, v83
	v_cmp_gt_u32_e32 vcc_lo, s0, v50
	v_cndmask_b32_e32 v84, v12, v84, vcc_lo
	v_cmp_gt_u32_e32 vcc_lo, s0, v51
	s_delay_alu instid0(VALU_DEP_4) | instskip(NEXT) | instid1(VALU_DEP_3)
	v_dual_sub_f32 v86, v31, v30 :: v_dual_add_f32 v33, v33, v83
	v_add_f32_e32 v12, v12, v84
	v_cndmask_b32_e32 v85, v32, v85, vcc_lo
	v_cmp_gt_u32_e32 vcc_lo, s0, v52
	s_delay_alu instid0(VALU_DEP_4) | instskip(SKIP_2) | instid1(VALU_DEP_3)
	v_cndmask_b32_e32 v86, v31, v86, vcc_lo
	v_cmp_gt_u32_e32 vcc_lo, s0, v53
	v_sub_f32_e32 v88, v11, v24
	v_add_f32_e32 v31, v31, v86
	v_cndmask_b32_e32 v87, v30, v87, vcc_lo
	v_cmp_gt_u32_e32 vcc_lo, s0, v54
	s_delay_alu instid0(VALU_DEP_4) | instskip(SKIP_1) | instid1(VALU_DEP_2)
	v_cndmask_b32_e32 v88, v11, v88, vcc_lo
	v_cmp_gt_u32_e32 vcc_lo, s0, v55
	v_dual_add_f32 v32, v32, v85 :: v_dual_add_f32 v11, v11, v88
	v_cndmask_b32_e32 v68, v24, v68, vcc_lo
	v_cmp_gt_u32_e32 vcc_lo, s0, v56
	v_cndmask_b32_e32 v69, v23, v69, vcc_lo
	v_cmp_gt_u32_e32 vcc_lo, s0, v57
	s_delay_alu instid0(VALU_DEP_2) | instskip(SKIP_4) | instid1(VALU_DEP_2)
	v_dual_add_f32 v30, v30, v87 :: v_dual_add_f32 v23, v23, v69
	v_cndmask_b32_e32 v70, v22, v70, vcc_lo
	v_cmp_gt_u32_e32 vcc_lo, s0, v58
	v_dual_sub_f32 v72, v21, v20 :: v_dual_cndmask_b32 v71, v10, v71
	v_cmp_gt_u32_e32 vcc_lo, s0, v59
	v_cndmask_b32_e32 v72, v21, v72, vcc_lo
	v_cmp_gt_u32_e32 vcc_lo, s0, v60
	v_add_f32_e32 v14, v14, v76
	s_delay_alu instid0(VALU_DEP_3) | instskip(SKIP_2) | instid1(VALU_DEP_2)
	v_dual_add_f32 v22, v22, v70 :: v_dual_add_f32 v21, v21, v72
	v_cndmask_b32_e32 v73, v20, v73, vcc_lo
	v_cmp_gt_u32_e32 vcc_lo, s0, v61
	v_add_f32_e32 v20, v20, v73
	v_cndmask_b32_e32 v74, v19, v74, vcc_lo
	v_cmp_gt_u32_e32 vcc_lo, s0, v62
	v_dual_sub_f32 v76, v17, v16 :: v_dual_cndmask_b32 v75, v18, v75
	v_cmp_gt_u32_e32 vcc_lo, s0, v63
	s_delay_alu instid0(VALU_DEP_2) | instskip(NEXT) | instid1(VALU_DEP_3)
	v_add_f32_e32 v18, v18, v75
	v_cndmask_b32_e32 v76, v17, v76, vcc_lo
	v_cmp_gt_u32_e32 vcc_lo, s0, v64
	v_add_f32_e32 v10, v10, v71
	s_add_i32 s0, s1, s0
	s_delay_alu instid0(VALU_DEP_3) | instskip(SKIP_4) | instid1(VALU_DEP_2)
	v_add_f32_e32 v17, v17, v76
	v_cndmask_b32_e32 v77, v16, v77, vcc_lo
	v_dual_add_f32 v24, v24, v68 :: v_dual_add_f32 v19, v19, v74
	s_and_b32 s0, s0, 0x1fff
	s_cmp_lg_u32 s4, 0
	v_add_f32_e32 v16, v16, v77
	s_cbranch_scc0 .LBB191_4
.LBB191_2:                              ; =>This Inner Loop Header: Depth=1
	s_waitcnt vmcnt(0)
	v_mov_b32_e32 v67, v15
	s_mov_b32 s5, exec_lo
	ds_store_b32 v25, v5 offset:1024
	s_waitcnt lgkmcnt(0)
	s_barrier
	buffer_gl0_inv
	v_cmpx_gt_u32_e64 s0, v65
	s_cbranch_execz .LBB191_1
; %bb.3:                                ;   in Loop: Header=BB191_2 Depth=1
	ds_load_b32 v67, v66 offset:4
	s_waitcnt lgkmcnt(0)
	v_sub_f32_e32 v67, v15, v67
	s_branch .LBB191_1
.LBB191_4:
	v_lshlrev_b32_e32 v0, 2, v0
	s_add_u32 s0, s8, s2
	s_addc_u32 s1, s9, s3
	s_delay_alu instid0(VALU_DEP_1) | instskip(NEXT) | instid1(VALU_DEP_1)
	v_add_co_u32 v40, s2, s0, v0
	v_add_co_ci_u32_e64 v41, null, s1, 0, s2
	s_delay_alu instid0(VALU_DEP_2) | instskip(NEXT) | instid1(VALU_DEP_2)
	v_add_co_u32 v34, vcc_lo, 0x1000, v40
	v_add_co_ci_u32_e32 v35, vcc_lo, 0, v41, vcc_lo
	v_add_co_u32 v36, vcc_lo, v40, 0x2000
	v_add_co_ci_u32_e32 v37, vcc_lo, 0, v41, vcc_lo
	;; [unrolled: 2-line block ×3, first 2 shown]
	s_clause 0x7
	global_store_b32 v0, v5, s[0:1]
	global_store_b32 v0, v4, s[0:1] offset:1024
	global_store_b32 v0, v3, s[0:1] offset:2048
	;; [unrolled: 1-line block ×3, first 2 shown]
	global_store_b32 v[34:35], v29, off offset:1024
	global_store_b32 v[34:35], v28, off offset:2048
	;; [unrolled: 1-line block ×4, first 2 shown]
	v_add_co_u32 v2, vcc_lo, 0x3000, v40
	v_add_co_ci_u32_e32 v3, vcc_lo, 0, v41, vcc_lo
	v_add_co_u32 v4, vcc_lo, v40, 0x4000
	v_add_co_ci_u32_e32 v5, vcc_lo, 0, v41, vcc_lo
	;; [unrolled: 2-line block ×3, first 2 shown]
	s_clause 0x7
	global_store_b32 v[38:39], v7, off offset:2048
	global_store_b32 v[38:39], v6, off offset:3072
	;; [unrolled: 1-line block ×8, first 2 shown]
	v_add_co_u32 v2, vcc_lo, 0x5000, v40
	v_add_co_ci_u32_e32 v3, vcc_lo, 0, v41, vcc_lo
	v_add_co_u32 v6, vcc_lo, v40, 0x6000
	v_add_co_ci_u32_e32 v7, vcc_lo, 0, v41, vcc_lo
	;; [unrolled: 2-line block ×3, first 2 shown]
	s_clause 0x4
	global_store_b32 v[36:37], v14, off
	global_store_b32 v[4:5], v13, off offset:-4096
	global_store_b32 v[4:5], v12, off
	global_store_b32 v[6:7], v11, off offset:-4096
	global_store_b32 v[6:7], v10, off
	v_add_co_u32 v4, vcc_lo, 0x7000, v40
	v_add_co_ci_u32_e32 v5, vcc_lo, 0, v41, vcc_lo
	s_clause 0xa
	global_store_b32 v[2:3], v24, off offset:1024
	global_store_b32 v[2:3], v23, off offset:2048
	;; [unrolled: 1-line block ×6, first 2 shown]
	global_store_b32 v[4:5], v18, off
	global_store_b32 v[4:5], v17, off offset:1024
	global_store_b32 v[4:5], v16, off offset:2048
	global_store_b32 v[36:37], v1, off offset:-4096
	global_store_b32 v[4:5], v15, off offset:3072
	s_nop 0
	s_sendmsg sendmsg(MSG_DEALLOC_VGPRS)
	s_endpgm
	.section	.rodata,"a",@progbits
	.p2align	6, 0x0
	.amdhsa_kernel _Z6kernelI27subtract_right_partial_tileLj256ELj32ELb0EJPfPiS1_jEEvDpT3_
		.amdhsa_group_segment_fixed_size 2048
		.amdhsa_private_segment_fixed_size 0
		.amdhsa_kernarg_size 28
		.amdhsa_user_sgpr_count 15
		.amdhsa_user_sgpr_dispatch_ptr 0
		.amdhsa_user_sgpr_queue_ptr 0
		.amdhsa_user_sgpr_kernarg_segment_ptr 1
		.amdhsa_user_sgpr_dispatch_id 0
		.amdhsa_user_sgpr_private_segment_size 0
		.amdhsa_wavefront_size32 1
		.amdhsa_uses_dynamic_stack 0
		.amdhsa_enable_private_segment 0
		.amdhsa_system_sgpr_workgroup_id_x 1
		.amdhsa_system_sgpr_workgroup_id_y 0
		.amdhsa_system_sgpr_workgroup_id_z 0
		.amdhsa_system_sgpr_workgroup_info 0
		.amdhsa_system_vgpr_workitem_id 0
		.amdhsa_next_free_vgpr 89
		.amdhsa_next_free_sgpr 16
		.amdhsa_reserve_vcc 1
		.amdhsa_float_round_mode_32 0
		.amdhsa_float_round_mode_16_64 0
		.amdhsa_float_denorm_mode_32 3
		.amdhsa_float_denorm_mode_16_64 3
		.amdhsa_dx10_clamp 1
		.amdhsa_ieee_mode 1
		.amdhsa_fp16_overflow 0
		.amdhsa_workgroup_processor_mode 1
		.amdhsa_memory_ordered 1
		.amdhsa_forward_progress 0
		.amdhsa_shared_vgpr_count 0
		.amdhsa_exception_fp_ieee_invalid_op 0
		.amdhsa_exception_fp_denorm_src 0
		.amdhsa_exception_fp_ieee_div_zero 0
		.amdhsa_exception_fp_ieee_overflow 0
		.amdhsa_exception_fp_ieee_underflow 0
		.amdhsa_exception_fp_ieee_inexact 0
		.amdhsa_exception_int_div_zero 0
	.end_amdhsa_kernel
	.section	.text._Z6kernelI27subtract_right_partial_tileLj256ELj32ELb0EJPfPiS1_jEEvDpT3_,"axG",@progbits,_Z6kernelI27subtract_right_partial_tileLj256ELj32ELb0EJPfPiS1_jEEvDpT3_,comdat
.Lfunc_end191:
	.size	_Z6kernelI27subtract_right_partial_tileLj256ELj32ELb0EJPfPiS1_jEEvDpT3_, .Lfunc_end191-_Z6kernelI27subtract_right_partial_tileLj256ELj32ELb0EJPfPiS1_jEEvDpT3_
                                        ; -- End function
	.section	.AMDGPU.csdata,"",@progbits
; Kernel info:
; codeLenInByte = 1940
; NumSgprs: 18
; NumVgprs: 89
; ScratchSize: 0
; MemoryBound: 0
; FloatMode: 240
; IeeeMode: 1
; LDSByteSize: 2048 bytes/workgroup (compile time only)
; SGPRBlocks: 2
; VGPRBlocks: 11
; NumSGPRsForWavesPerEU: 18
; NumVGPRsForWavesPerEU: 89
; Occupancy: 16
; WaveLimiterHint : 1
; COMPUTE_PGM_RSRC2:SCRATCH_EN: 0
; COMPUTE_PGM_RSRC2:USER_SGPR: 15
; COMPUTE_PGM_RSRC2:TRAP_HANDLER: 0
; COMPUTE_PGM_RSRC2:TGID_X_EN: 1
; COMPUTE_PGM_RSRC2:TGID_Y_EN: 0
; COMPUTE_PGM_RSRC2:TGID_Z_EN: 0
; COMPUTE_PGM_RSRC2:TIDIG_COMP_CNT: 0
	.section	.text._Z6kernelI27subtract_right_partial_tileLj256ELj1ELb0EJPaPiS1_jEEvDpT3_,"axG",@progbits,_Z6kernelI27subtract_right_partial_tileLj256ELj1ELb0EJPaPiS1_jEEvDpT3_,comdat
	.protected	_Z6kernelI27subtract_right_partial_tileLj256ELj1ELb0EJPaPiS1_jEEvDpT3_ ; -- Begin function _Z6kernelI27subtract_right_partial_tileLj256ELj1ELb0EJPaPiS1_jEEvDpT3_
	.globl	_Z6kernelI27subtract_right_partial_tileLj256ELj1ELb0EJPaPiS1_jEEvDpT3_
	.p2align	8
	.type	_Z6kernelI27subtract_right_partial_tileLj256ELj1ELb0EJPaPiS1_jEEvDpT3_,@function
_Z6kernelI27subtract_right_partial_tileLj256ELj1ELb0EJPaPiS1_jEEvDpT3_: ; @_Z6kernelI27subtract_right_partial_tileLj256ELj1ELb0EJPaPiS1_jEEvDpT3_
; %bb.0:
	s_clause 0x1
	s_load_b128 s[8:11], s[0:1], 0x0
	s_load_b64 s[2:3], s[0:1], 0x10
	s_lshl_b32 s4, s15, 8
	s_load_b32 s5, s[0:1], 0x18
	s_mov_b32 s6, s15
	s_mov_b32 s7, 0
	s_waitcnt lgkmcnt(0)
	s_add_u32 s8, s8, s4
	s_addc_u32 s9, s9, 0
	s_lshl_b64 s[0:1], s[6:7], 2
	global_load_u8 v1, v0, s[8:9]
	v_cvt_f32_u32_e32 v2, s5
	s_add_u32 s0, s10, s0
	s_addc_u32 s1, s11, s1
	s_sub_i32 s7, 0, s5
	s_load_b32 s0, s[0:1], 0x0
	v_rcp_iflag_f32_e32 v2, v2
	s_waitcnt_depctr 0xfff
	v_mul_f32_e32 v2, 0x4f7ffffe, v2
	s_delay_alu instid0(VALU_DEP_1) | instskip(NEXT) | instid1(VALU_DEP_1)
	v_cvt_u32_f32_e32 v2, v2
	v_readfirstlane_b32 s6, v2
	v_add_nc_u32_e32 v2, 1, v0
	s_delay_alu instid0(VALU_DEP_2) | instskip(NEXT) | instid1(SALU_CYCLE_1)
	s_mul_i32 s7, s7, s6
	s_mul_hi_u32 s7, s6, s7
	s_delay_alu instid0(SALU_CYCLE_1) | instskip(NEXT) | instid1(SALU_CYCLE_1)
	s_add_i32 s6, s6, s7
	s_lshr_b32 s1, s6, 24
	s_delay_alu instid0(SALU_CYCLE_1) | instskip(SKIP_2) | instid1(SALU_CYCLE_1)
	s_mul_i32 s6, s1, s5
	s_add_i32 s7, s1, 1
	s_sub_i32 s6, 0x100, s6
	s_sub_i32 s8, s6, s5
	s_cmp_ge_u32 s6, s5
	s_cselect_b32 s1, s7, s1
	s_cselect_b32 s6, s8, s6
	s_add_i32 s7, s1, 1
	s_cmp_ge_u32 s6, s5
	s_cselect_b32 s1, s7, s1
	s_max_u32 s5, s5, 1
	s_add_i32 s1, s1, 1
	s_branch .LBB192_2
	.p2align	6
.LBB192_1:                              ;   in Loop: Header=BB192_2 Depth=1
	s_or_b32 exec_lo, exec_lo, s6
	s_add_i32 s0, s1, s0
	s_delay_alu instid0(VALU_DEP_1)
	v_add_nc_u16 v1, v3, v1
	s_add_i32 s5, s5, -1
	s_and_b32 s0, s0, 0xff
	s_cmp_lg_u32 s5, 0
	s_barrier
	buffer_gl0_inv
	s_cbranch_scc0 .LBB192_4
.LBB192_2:                              ; =>This Inner Loop Header: Depth=1
	s_waitcnt vmcnt(0)
	v_mov_b32_e32 v3, v1
	s_mov_b32 s6, exec_lo
	ds_store_b8 v0, v1 offset:256
	s_waitcnt lgkmcnt(0)
	s_barrier
	buffer_gl0_inv
	v_cmpx_gt_u32_e64 s0, v2
	s_cbranch_execz .LBB192_1
; %bb.3:                                ;   in Loop: Header=BB192_2 Depth=1
	ds_load_u8 v3, v0 offset:257
	s_waitcnt lgkmcnt(0)
	v_sub_nc_u16 v3, v1, v3
	s_branch .LBB192_1
.LBB192_4:
	s_add_u32 s0, s2, s4
	s_addc_u32 s1, s3, 0
	v_add_co_u32 v2, s0, s0, v0
	s_delay_alu instid0(VALU_DEP_1)
	v_add_co_ci_u32_e64 v3, null, s1, 0, s0
	global_store_b8 v[2:3], v1, off
	s_nop 0
	s_sendmsg sendmsg(MSG_DEALLOC_VGPRS)
	s_endpgm
	.section	.rodata,"a",@progbits
	.p2align	6, 0x0
	.amdhsa_kernel _Z6kernelI27subtract_right_partial_tileLj256ELj1ELb0EJPaPiS1_jEEvDpT3_
		.amdhsa_group_segment_fixed_size 512
		.amdhsa_private_segment_fixed_size 0
		.amdhsa_kernarg_size 28
		.amdhsa_user_sgpr_count 15
		.amdhsa_user_sgpr_dispatch_ptr 0
		.amdhsa_user_sgpr_queue_ptr 0
		.amdhsa_user_sgpr_kernarg_segment_ptr 1
		.amdhsa_user_sgpr_dispatch_id 0
		.amdhsa_user_sgpr_private_segment_size 0
		.amdhsa_wavefront_size32 1
		.amdhsa_uses_dynamic_stack 0
		.amdhsa_enable_private_segment 0
		.amdhsa_system_sgpr_workgroup_id_x 1
		.amdhsa_system_sgpr_workgroup_id_y 0
		.amdhsa_system_sgpr_workgroup_id_z 0
		.amdhsa_system_sgpr_workgroup_info 0
		.amdhsa_system_vgpr_workitem_id 0
		.amdhsa_next_free_vgpr 4
		.amdhsa_next_free_sgpr 16
		.amdhsa_reserve_vcc 0
		.amdhsa_float_round_mode_32 0
		.amdhsa_float_round_mode_16_64 0
		.amdhsa_float_denorm_mode_32 3
		.amdhsa_float_denorm_mode_16_64 3
		.amdhsa_dx10_clamp 1
		.amdhsa_ieee_mode 1
		.amdhsa_fp16_overflow 0
		.amdhsa_workgroup_processor_mode 1
		.amdhsa_memory_ordered 1
		.amdhsa_forward_progress 0
		.amdhsa_shared_vgpr_count 0
		.amdhsa_exception_fp_ieee_invalid_op 0
		.amdhsa_exception_fp_denorm_src 0
		.amdhsa_exception_fp_ieee_div_zero 0
		.amdhsa_exception_fp_ieee_overflow 0
		.amdhsa_exception_fp_ieee_underflow 0
		.amdhsa_exception_fp_ieee_inexact 0
		.amdhsa_exception_int_div_zero 0
	.end_amdhsa_kernel
	.section	.text._Z6kernelI27subtract_right_partial_tileLj256ELj1ELb0EJPaPiS1_jEEvDpT3_,"axG",@progbits,_Z6kernelI27subtract_right_partial_tileLj256ELj1ELb0EJPaPiS1_jEEvDpT3_,comdat
.Lfunc_end192:
	.size	_Z6kernelI27subtract_right_partial_tileLj256ELj1ELb0EJPaPiS1_jEEvDpT3_, .Lfunc_end192-_Z6kernelI27subtract_right_partial_tileLj256ELj1ELb0EJPaPiS1_jEEvDpT3_
                                        ; -- End function
	.section	.AMDGPU.csdata,"",@progbits
; Kernel info:
; codeLenInByte = 376
; NumSgprs: 16
; NumVgprs: 4
; ScratchSize: 0
; MemoryBound: 0
; FloatMode: 240
; IeeeMode: 1
; LDSByteSize: 512 bytes/workgroup (compile time only)
; SGPRBlocks: 1
; VGPRBlocks: 0
; NumSGPRsForWavesPerEU: 16
; NumVGPRsForWavesPerEU: 4
; Occupancy: 16
; WaveLimiterHint : 0
; COMPUTE_PGM_RSRC2:SCRATCH_EN: 0
; COMPUTE_PGM_RSRC2:USER_SGPR: 15
; COMPUTE_PGM_RSRC2:TRAP_HANDLER: 0
; COMPUTE_PGM_RSRC2:TGID_X_EN: 1
; COMPUTE_PGM_RSRC2:TGID_Y_EN: 0
; COMPUTE_PGM_RSRC2:TGID_Z_EN: 0
; COMPUTE_PGM_RSRC2:TIDIG_COMP_CNT: 0
	.section	.text._Z6kernelI27subtract_right_partial_tileLj256ELj3ELb0EJPaPiS1_jEEvDpT3_,"axG",@progbits,_Z6kernelI27subtract_right_partial_tileLj256ELj3ELb0EJPaPiS1_jEEvDpT3_,comdat
	.protected	_Z6kernelI27subtract_right_partial_tileLj256ELj3ELb0EJPaPiS1_jEEvDpT3_ ; -- Begin function _Z6kernelI27subtract_right_partial_tileLj256ELj3ELb0EJPaPiS1_jEEvDpT3_
	.globl	_Z6kernelI27subtract_right_partial_tileLj256ELj3ELb0EJPaPiS1_jEEvDpT3_
	.p2align	8
	.type	_Z6kernelI27subtract_right_partial_tileLj256ELj3ELb0EJPaPiS1_jEEvDpT3_,@function
_Z6kernelI27subtract_right_partial_tileLj256ELj3ELb0EJPaPiS1_jEEvDpT3_: ; @_Z6kernelI27subtract_right_partial_tileLj256ELj3ELb0EJPaPiS1_jEEvDpT3_
; %bb.0:
	s_clause 0x1
	s_load_b128 s[8:11], s[0:1], 0x0
	s_load_b64 s[2:3], s[0:1], 0x10
	s_mul_i32 s4, s15, 0x300
	s_load_b32 s5, s[0:1], 0x18
	s_mov_b32 s6, s15
	s_mov_b32 s7, 0
                                        ; implicit-def: $vgpr5
	s_waitcnt lgkmcnt(0)
	s_add_u32 s8, s8, s4
	s_addc_u32 s9, s9, 0
	s_lshl_b64 s[0:1], s[6:7], 2
	s_clause 0x2
	global_load_u8 v1, v0, s[8:9] offset:256
	global_load_u8 v2, v0, s[8:9]
	global_load_u8 v3, v0, s[8:9] offset:512
	v_cvt_f32_u32_e32 v4, s5
	s_add_u32 s0, s10, s0
	s_addc_u32 s1, s11, s1
	s_sub_i32 s7, 0, s5
	s_load_b32 s0, s[0:1], 0x0
	v_rcp_iflag_f32_e32 v4, v4
	s_waitcnt_depctr 0xfff
	v_mul_f32_e32 v4, 0x4f7ffffe, v4
	s_delay_alu instid0(VALU_DEP_1) | instskip(NEXT) | instid1(VALU_DEP_1)
	v_cvt_u32_f32_e32 v4, v4
	v_readfirstlane_b32 s6, v4
	s_delay_alu instid0(VALU_DEP_1) | instskip(NEXT) | instid1(SALU_CYCLE_1)
	s_mul_i32 s7, s7, s6
	s_mul_hi_u32 s7, s6, s7
	s_delay_alu instid0(SALU_CYCLE_1) | instskip(NEXT) | instid1(SALU_CYCLE_1)
	s_add_i32 s6, s6, s7
	s_mul_hi_u32 s6, s6, 0x300
	s_delay_alu instid0(SALU_CYCLE_1) | instskip(NEXT) | instid1(SALU_CYCLE_1)
	s_mul_i32 s7, s6, s5
	s_sub_i32 s1, 0x300, s7
	s_add_i32 s7, s6, 1
	s_sub_i32 s8, s1, s5
	s_cmp_ge_u32 s1, s5
	s_cselect_b32 s6, s7, s6
	s_cselect_b32 s1, s8, s1
	s_add_i32 s7, s6, 1
	s_cmp_ge_u32 s1, s5
	s_cselect_b32 s1, s7, s6
	s_max_u32 s5, s5, 1
	s_add_i32 s1, s1, 1
	s_waitcnt vmcnt(2)
	v_lshlrev_b16 v1, 8, v1
	s_waitcnt vmcnt(1)
	s_delay_alu instid0(VALU_DEP_1) | instskip(SKIP_1) | instid1(VALU_DEP_2)
	v_or_b32_e32 v2, v2, v1
	v_mad_u32_u24 v1, v0, 3, 1
	v_and_b32_e32 v4, 0xffff, v2
	v_mad_u32_u24 v2, v0, 3, 2
	s_waitcnt vmcnt(0)
	s_delay_alu instid0(VALU_DEP_2)
	v_lshl_or_b32 v4, v3, 16, v4
	v_mad_u32_u24 v3, v0, 3, 3
	s_branch .LBB193_2
.LBB193_1:                              ;   in Loop: Header=BB193_2 Depth=1
	s_or_b32 exec_lo, exec_lo, s6
	v_add_nc_u16 v8, v8, v4
	s_delay_alu instid0(VALU_DEP_2)
	v_add_nc_u16 v6, v9, v6
	v_add_nc_u16 v7, v5, v7
	s_add_i32 s0, s1, s0
	s_add_i32 s5, s5, -1
	v_and_b32_e32 v4, 0xff, v8
	v_lshlrev_b16 v9, 8, v6
	v_and_b32_e32 v10, 0xff, v7
	s_mul_hi_u32 s6, s0, 0xaaaaaaab
	s_delay_alu instid0(SALU_CYCLE_1) | instskip(NEXT) | instid1(VALU_DEP_2)
	s_lshr_b32 s6, s6, 9
	v_or_b32_e32 v4, v4, v9
	s_delay_alu instid0(VALU_DEP_2)
	v_lshlrev_b32_e32 v9, 16, v10
	s_mulk_i32 s6, 0x300
	s_barrier
	s_sub_i32 s0, s0, s6
	v_and_b32_e32 v4, 0xffff, v4
	s_cmp_lg_u32 s5, 0
	buffer_gl0_inv
	v_or_b32_e32 v4, v4, v9
	s_cbranch_scc0 .LBB193_4
.LBB193_2:                              ; =>This Inner Loop Header: Depth=1
	s_delay_alu instid0(VALU_DEP_1)
	v_lshrrev_b32_e32 v6, 8, v4
	v_lshrrev_b32_e32 v7, 16, v4
	s_waitcnt lgkmcnt(0)
	v_cmp_gt_u32_e32 vcc_lo, s0, v1
	v_and_b32_e32 v10, 0xffffff00, v4
	s_mov_b32 s6, exec_lo
	v_sub_nc_u16 v8, v4, v6
	v_sub_nc_u16 v9, v6, v7
	ds_store_b8 v0, v4 offset:256
	s_waitcnt lgkmcnt(0)
	s_barrier
	v_dual_cndmask_b32 v8, v4, v8 :: v_dual_and_b32 v5, 0xff, v5
	v_lshlrev_b16 v9, 8, v9
	v_cmp_gt_u32_e32 vcc_lo, s0, v2
	buffer_gl0_inv
	v_and_b32_e32 v8, 0xff, v8
	s_delay_alu instid0(VALU_DEP_1) | instskip(SKIP_1) | instid1(VALU_DEP_2)
	v_or_b32_e32 v10, v8, v10
	v_or_b32_e32 v8, v8, v9
	v_and_b32_e32 v9, 0xffff, v10
	s_delay_alu instid0(VALU_DEP_2) | instskip(NEXT) | instid1(VALU_DEP_1)
	v_and_b32_e32 v8, 0xffff, v8
	v_dual_cndmask_b32 v8, v9, v8 :: v_dual_lshlrev_b32 v5, 16, v5
	s_delay_alu instid0(VALU_DEP_1) | instskip(NEXT) | instid1(VALU_DEP_1)
	v_or_b32_e32 v5, v8, v5
	v_lshrrev_b32_e32 v9, 8, v5
	v_mov_b32_e32 v5, v7
	v_cmpx_gt_u32_e64 s0, v3
	s_cbranch_execz .LBB193_1
; %bb.3:                                ;   in Loop: Header=BB193_2 Depth=1
	v_and_b32_e32 v5, 0xff, v8
	ds_load_u8 v10, v0 offset:257
	v_lshlrev_b16 v8, 8, v9
	s_delay_alu instid0(VALU_DEP_1) | instskip(NEXT) | instid1(VALU_DEP_1)
	v_or_b32_e32 v5, v5, v8
	v_and_b32_e32 v5, 0xffff, v5
	s_delay_alu instid0(VALU_DEP_1) | instskip(SKIP_2) | instid1(VALU_DEP_2)
	v_and_or_b32 v8, 0xff0000, v4, v5
	s_waitcnt lgkmcnt(0)
	v_sub_nc_u16 v5, v7, v10
	v_lshrrev_b32_e32 v9, 8, v8
	s_branch .LBB193_1
.LBB193_4:
	s_add_u32 s0, s2, s4
	s_addc_u32 s1, s3, 0
	v_add_co_u32 v0, s0, s0, v0
	s_delay_alu instid0(VALU_DEP_1)
	v_add_co_ci_u32_e64 v1, null, s1, 0, s0
	s_clause 0x2
	global_store_b8 v[0:1], v8, off
	global_store_b8 v[0:1], v6, off offset:256
	global_store_b8 v[0:1], v7, off offset:512
	s_nop 0
	s_sendmsg sendmsg(MSG_DEALLOC_VGPRS)
	s_endpgm
	.section	.rodata,"a",@progbits
	.p2align	6, 0x0
	.amdhsa_kernel _Z6kernelI27subtract_right_partial_tileLj256ELj3ELb0EJPaPiS1_jEEvDpT3_
		.amdhsa_group_segment_fixed_size 512
		.amdhsa_private_segment_fixed_size 0
		.amdhsa_kernarg_size 28
		.amdhsa_user_sgpr_count 15
		.amdhsa_user_sgpr_dispatch_ptr 0
		.amdhsa_user_sgpr_queue_ptr 0
		.amdhsa_user_sgpr_kernarg_segment_ptr 1
		.amdhsa_user_sgpr_dispatch_id 0
		.amdhsa_user_sgpr_private_segment_size 0
		.amdhsa_wavefront_size32 1
		.amdhsa_uses_dynamic_stack 0
		.amdhsa_enable_private_segment 0
		.amdhsa_system_sgpr_workgroup_id_x 1
		.amdhsa_system_sgpr_workgroup_id_y 0
		.amdhsa_system_sgpr_workgroup_id_z 0
		.amdhsa_system_sgpr_workgroup_info 0
		.amdhsa_system_vgpr_workitem_id 0
		.amdhsa_next_free_vgpr 11
		.amdhsa_next_free_sgpr 16
		.amdhsa_reserve_vcc 1
		.amdhsa_float_round_mode_32 0
		.amdhsa_float_round_mode_16_64 0
		.amdhsa_float_denorm_mode_32 3
		.amdhsa_float_denorm_mode_16_64 3
		.amdhsa_dx10_clamp 1
		.amdhsa_ieee_mode 1
		.amdhsa_fp16_overflow 0
		.amdhsa_workgroup_processor_mode 1
		.amdhsa_memory_ordered 1
		.amdhsa_forward_progress 0
		.amdhsa_shared_vgpr_count 0
		.amdhsa_exception_fp_ieee_invalid_op 0
		.amdhsa_exception_fp_denorm_src 0
		.amdhsa_exception_fp_ieee_div_zero 0
		.amdhsa_exception_fp_ieee_overflow 0
		.amdhsa_exception_fp_ieee_underflow 0
		.amdhsa_exception_fp_ieee_inexact 0
		.amdhsa_exception_int_div_zero 0
	.end_amdhsa_kernel
	.section	.text._Z6kernelI27subtract_right_partial_tileLj256ELj3ELb0EJPaPiS1_jEEvDpT3_,"axG",@progbits,_Z6kernelI27subtract_right_partial_tileLj256ELj3ELb0EJPaPiS1_jEEvDpT3_,comdat
.Lfunc_end193:
	.size	_Z6kernelI27subtract_right_partial_tileLj256ELj3ELb0EJPaPiS1_jEEvDpT3_, .Lfunc_end193-_Z6kernelI27subtract_right_partial_tileLj256ELj3ELb0EJPaPiS1_jEEvDpT3_
                                        ; -- End function
	.section	.AMDGPU.csdata,"",@progbits
; Kernel info:
; codeLenInByte = 748
; NumSgprs: 18
; NumVgprs: 11
; ScratchSize: 0
; MemoryBound: 0
; FloatMode: 240
; IeeeMode: 1
; LDSByteSize: 512 bytes/workgroup (compile time only)
; SGPRBlocks: 2
; VGPRBlocks: 1
; NumSGPRsForWavesPerEU: 18
; NumVGPRsForWavesPerEU: 11
; Occupancy: 16
; WaveLimiterHint : 1
; COMPUTE_PGM_RSRC2:SCRATCH_EN: 0
; COMPUTE_PGM_RSRC2:USER_SGPR: 15
; COMPUTE_PGM_RSRC2:TRAP_HANDLER: 0
; COMPUTE_PGM_RSRC2:TGID_X_EN: 1
; COMPUTE_PGM_RSRC2:TGID_Y_EN: 0
; COMPUTE_PGM_RSRC2:TGID_Z_EN: 0
; COMPUTE_PGM_RSRC2:TIDIG_COMP_CNT: 0
	.section	.text._Z6kernelI27subtract_right_partial_tileLj256ELj4ELb0EJPaPiS1_jEEvDpT3_,"axG",@progbits,_Z6kernelI27subtract_right_partial_tileLj256ELj4ELb0EJPaPiS1_jEEvDpT3_,comdat
	.protected	_Z6kernelI27subtract_right_partial_tileLj256ELj4ELb0EJPaPiS1_jEEvDpT3_ ; -- Begin function _Z6kernelI27subtract_right_partial_tileLj256ELj4ELb0EJPaPiS1_jEEvDpT3_
	.globl	_Z6kernelI27subtract_right_partial_tileLj256ELj4ELb0EJPaPiS1_jEEvDpT3_
	.p2align	8
	.type	_Z6kernelI27subtract_right_partial_tileLj256ELj4ELb0EJPaPiS1_jEEvDpT3_,@function
_Z6kernelI27subtract_right_partial_tileLj256ELj4ELb0EJPaPiS1_jEEvDpT3_: ; @_Z6kernelI27subtract_right_partial_tileLj256ELj4ELb0EJPaPiS1_jEEvDpT3_
; %bb.0:
	s_clause 0x1
	s_load_b128 s[8:11], s[0:1], 0x0
	s_load_b64 s[2:3], s[0:1], 0x10
	s_lshl_b32 s4, s15, 10
	s_load_b32 s5, s[0:1], 0x18
	s_mov_b32 s6, s15
	s_mov_b32 s7, 0
	v_lshlrev_b32_e32 v6, 2, v0
	s_waitcnt lgkmcnt(0)
	s_add_u32 s8, s8, s4
	s_addc_u32 s9, s9, 0
	s_clause 0x3
	global_load_u8 v2, v0, s[8:9] offset:256
	global_load_u8 v3, v0, s[8:9] offset:768
	global_load_u8 v4, v0, s[8:9]
	global_load_u8 v5, v0, s[8:9] offset:512
	v_cvt_f32_u32_e32 v1, s5
	s_lshl_b64 s[0:1], s[6:7], 2
	s_delay_alu instid0(SALU_CYCLE_1) | instskip(SKIP_1) | instid1(VALU_DEP_1)
	s_add_u32 s0, s10, s0
	s_addc_u32 s1, s11, s1
	v_rcp_iflag_f32_e32 v1, v1
	s_sub_i32 s7, 0, s5
	s_load_b32 s0, s[0:1], 0x0
	s_waitcnt_depctr 0xfff
	v_mul_f32_e32 v1, 0x4f7ffffe, v1
	s_delay_alu instid0(VALU_DEP_1) | instskip(NEXT) | instid1(VALU_DEP_1)
	v_cvt_u32_f32_e32 v1, v1
	v_readfirstlane_b32 s6, v1
	v_or_b32_e32 v1, 1, v6
	s_delay_alu instid0(VALU_DEP_2) | instskip(NEXT) | instid1(SALU_CYCLE_1)
	s_mul_i32 s7, s7, s6
	s_mul_hi_u32 s7, s6, s7
	s_delay_alu instid0(SALU_CYCLE_1) | instskip(NEXT) | instid1(SALU_CYCLE_1)
	s_add_i32 s6, s6, s7
	s_lshr_b32 s6, s6, 22
	s_delay_alu instid0(SALU_CYCLE_1) | instskip(NEXT) | instid1(SALU_CYCLE_1)
	s_mul_i32 s7, s6, s5
	s_sub_i32 s1, 0x400, s7
	s_add_i32 s7, s6, 1
	s_sub_i32 s8, s1, s5
	s_cmp_ge_u32 s1, s5
	s_cselect_b32 s6, s7, s6
	s_cselect_b32 s1, s8, s1
	s_add_i32 s7, s6, 1
	s_cmp_ge_u32 s1, s5
	s_cselect_b32 s1, s7, s6
	s_max_u32 s5, s5, 1
	s_add_i32 s1, s1, 1
	s_waitcnt vmcnt(3)
	v_lshlrev_b16 v2, 8, v2
	s_waitcnt vmcnt(2)
	v_lshlrev_b16 v3, 8, v3
	s_waitcnt vmcnt(1)
	s_delay_alu instid0(VALU_DEP_2) | instskip(SKIP_1) | instid1(VALU_DEP_2)
	v_or_b32_e32 v4, v4, v2
	s_waitcnt vmcnt(0)
	v_or_b32_e32 v3, v5, v3
	v_or_b32_e32 v2, 2, v6
	s_delay_alu instid0(VALU_DEP_3) | instskip(NEXT) | instid1(VALU_DEP_3)
	v_and_b32_e32 v4, 0xffff, v4
	v_lshlrev_b32_e32 v5, 16, v3
	v_or_b32_e32 v3, 3, v6
	s_delay_alu instid0(VALU_DEP_2)
	v_or_b32_e32 v5, v4, v5
	v_add_nc_u32_e32 v4, 4, v6
                                        ; implicit-def: $vgpr6
	s_branch .LBB194_2
.LBB194_1:                              ;   in Loop: Header=BB194_2 Depth=1
	s_or_b32 exec_lo, exec_lo, s6
	v_add_nc_u16 v11, v11, v5
	s_delay_alu instid0(VALU_DEP_2)
	v_add_nc_u16 v7, v13, v7
	v_add_nc_u16 v9, v10, v9
	;; [unrolled: 1-line block ×3, first 2 shown]
	s_add_i32 s0, s1, s0
	v_and_b32_e32 v5, 0xff, v11
	v_lshlrev_b16 v10, 8, v7
	v_and_b32_e32 v12, 0xff, v9
	v_lshlrev_b16 v13, 8, v8
	s_add_i32 s5, s5, -1
	s_and_b32 s0, s0, 0x3ff
	v_or_b32_e32 v5, v5, v10
	s_cmp_lg_u32 s5, 0
	v_or_b32_e32 v10, v12, v13
	s_barrier
	s_delay_alu instid0(VALU_DEP_2) | instskip(SKIP_2) | instid1(VALU_DEP_1)
	v_and_b32_e32 v5, 0xffff, v5
	buffer_gl0_inv
	v_lshlrev_b32_e32 v10, 16, v10
	v_or_b32_e32 v5, v5, v10
	s_cbranch_scc0 .LBB194_4
.LBB194_2:                              ; =>This Inner Loop Header: Depth=1
	s_delay_alu instid0(VALU_DEP_1)
	v_lshrrev_b32_e32 v7, 8, v5
	v_lshrrev_b32_e32 v9, 16, v5
	;; [unrolled: 1-line block ×3, first 2 shown]
	s_waitcnt lgkmcnt(0)
	v_cmp_gt_u32_e32 vcc_lo, s0, v1
	v_and_b32_e32 v12, 0xffffff00, v5
	v_sub_nc_u16 v10, v5, v7
	v_sub_nc_u16 v11, v7, v9
	;; [unrolled: 1-line block ×3, first 2 shown]
	v_lshlrev_b16 v6, 8, v6
	v_and_b32_e32 v14, 0xff, v9
	v_cndmask_b32_e32 v10, v5, v10, vcc_lo
	v_lshlrev_b16 v11, 8, v11
	v_and_b32_e32 v13, 0xff, v13
	v_cmp_gt_u32_e32 vcc_lo, s0, v3
	s_mov_b32 s6, exec_lo
	v_and_b32_e32 v10, 0xff, v10
	ds_store_b8 v0, v5 offset:256
	s_waitcnt lgkmcnt(0)
	s_barrier
	buffer_gl0_inv
	v_or_b32_e32 v12, v10, v12
	v_or_b32_e32 v10, v10, v11
	;; [unrolled: 1-line block ×4, first 2 shown]
	s_delay_alu instid0(VALU_DEP_4) | instskip(NEXT) | instid1(VALU_DEP_4)
	v_and_b32_e32 v12, 0xffff, v12
	v_and_b32_e32 v13, 0xffff, v10
	s_delay_alu instid0(VALU_DEP_3) | instskip(SKIP_2) | instid1(VALU_DEP_4)
	v_cndmask_b32_e32 v10, v11, v6, vcc_lo
	v_mov_b32_e32 v6, v8
	v_cmp_gt_u32_e32 vcc_lo, s0, v2
	v_cndmask_b32_e32 v11, v12, v13, vcc_lo
	s_delay_alu instid0(VALU_DEP_1) | instskip(NEXT) | instid1(VALU_DEP_1)
	v_lshl_or_b32 v12, v10, 16, v11
	v_lshrrev_b32_e32 v13, 8, v12
	v_cmpx_gt_u32_e64 s0, v4
	s_cbranch_execz .LBB194_1
; %bb.3:                                ;   in Loop: Header=BB194_2 Depth=1
	v_and_b32_e32 v6, 0xffffff00, v9
	v_and_b32_e32 v10, 0xff, v10
	ds_load_u8 v13, v0 offset:257
	v_or_b32_e32 v6, v10, v6
	s_delay_alu instid0(VALU_DEP_1) | instskip(NEXT) | instid1(VALU_DEP_1)
	v_lshlrev_b32_e32 v6, 16, v6
	v_and_or_b32 v11, 0xffff, v12, v6
	s_delay_alu instid0(VALU_DEP_1)
	v_lshrrev_b32_e32 v10, 16, v11
	s_waitcnt lgkmcnt(0)
	v_sub_nc_u16 v6, v8, v13
	v_lshrrev_b32_e32 v13, 8, v11
	s_branch .LBB194_1
.LBB194_4:
	s_add_u32 s0, s2, s4
	s_addc_u32 s1, s3, 0
	v_add_co_u32 v0, s0, s0, v0
	s_delay_alu instid0(VALU_DEP_1)
	v_add_co_ci_u32_e64 v1, null, s1, 0, s0
	s_clause 0x3
	global_store_b8 v[0:1], v11, off
	global_store_b8 v[0:1], v7, off offset:256
	global_store_b8 v[0:1], v9, off offset:512
	;; [unrolled: 1-line block ×3, first 2 shown]
	s_nop 0
	s_sendmsg sendmsg(MSG_DEALLOC_VGPRS)
	s_endpgm
	.section	.rodata,"a",@progbits
	.p2align	6, 0x0
	.amdhsa_kernel _Z6kernelI27subtract_right_partial_tileLj256ELj4ELb0EJPaPiS1_jEEvDpT3_
		.amdhsa_group_segment_fixed_size 512
		.amdhsa_private_segment_fixed_size 0
		.amdhsa_kernarg_size 28
		.amdhsa_user_sgpr_count 15
		.amdhsa_user_sgpr_dispatch_ptr 0
		.amdhsa_user_sgpr_queue_ptr 0
		.amdhsa_user_sgpr_kernarg_segment_ptr 1
		.amdhsa_user_sgpr_dispatch_id 0
		.amdhsa_user_sgpr_private_segment_size 0
		.amdhsa_wavefront_size32 1
		.amdhsa_uses_dynamic_stack 0
		.amdhsa_enable_private_segment 0
		.amdhsa_system_sgpr_workgroup_id_x 1
		.amdhsa_system_sgpr_workgroup_id_y 0
		.amdhsa_system_sgpr_workgroup_id_z 0
		.amdhsa_system_sgpr_workgroup_info 0
		.amdhsa_system_vgpr_workitem_id 0
		.amdhsa_next_free_vgpr 15
		.amdhsa_next_free_sgpr 16
		.amdhsa_reserve_vcc 1
		.amdhsa_float_round_mode_32 0
		.amdhsa_float_round_mode_16_64 0
		.amdhsa_float_denorm_mode_32 3
		.amdhsa_float_denorm_mode_16_64 3
		.amdhsa_dx10_clamp 1
		.amdhsa_ieee_mode 1
		.amdhsa_fp16_overflow 0
		.amdhsa_workgroup_processor_mode 1
		.amdhsa_memory_ordered 1
		.amdhsa_forward_progress 0
		.amdhsa_shared_vgpr_count 0
		.amdhsa_exception_fp_ieee_invalid_op 0
		.amdhsa_exception_fp_denorm_src 0
		.amdhsa_exception_fp_ieee_div_zero 0
		.amdhsa_exception_fp_ieee_overflow 0
		.amdhsa_exception_fp_ieee_underflow 0
		.amdhsa_exception_fp_ieee_inexact 0
		.amdhsa_exception_int_div_zero 0
	.end_amdhsa_kernel
	.section	.text._Z6kernelI27subtract_right_partial_tileLj256ELj4ELb0EJPaPiS1_jEEvDpT3_,"axG",@progbits,_Z6kernelI27subtract_right_partial_tileLj256ELj4ELb0EJPaPiS1_jEEvDpT3_,comdat
.Lfunc_end194:
	.size	_Z6kernelI27subtract_right_partial_tileLj256ELj4ELb0EJPaPiS1_jEEvDpT3_, .Lfunc_end194-_Z6kernelI27subtract_right_partial_tileLj256ELj4ELb0EJPaPiS1_jEEvDpT3_
                                        ; -- End function
	.section	.AMDGPU.csdata,"",@progbits
; Kernel info:
; codeLenInByte = 824
; NumSgprs: 18
; NumVgprs: 15
; ScratchSize: 0
; MemoryBound: 0
; FloatMode: 240
; IeeeMode: 1
; LDSByteSize: 512 bytes/workgroup (compile time only)
; SGPRBlocks: 2
; VGPRBlocks: 1
; NumSGPRsForWavesPerEU: 18
; NumVGPRsForWavesPerEU: 15
; Occupancy: 16
; WaveLimiterHint : 1
; COMPUTE_PGM_RSRC2:SCRATCH_EN: 0
; COMPUTE_PGM_RSRC2:USER_SGPR: 15
; COMPUTE_PGM_RSRC2:TRAP_HANDLER: 0
; COMPUTE_PGM_RSRC2:TGID_X_EN: 1
; COMPUTE_PGM_RSRC2:TGID_Y_EN: 0
; COMPUTE_PGM_RSRC2:TGID_Z_EN: 0
; COMPUTE_PGM_RSRC2:TIDIG_COMP_CNT: 0
	.section	.text._Z6kernelI27subtract_right_partial_tileLj256ELj8ELb0EJPaPiS1_jEEvDpT3_,"axG",@progbits,_Z6kernelI27subtract_right_partial_tileLj256ELj8ELb0EJPaPiS1_jEEvDpT3_,comdat
	.protected	_Z6kernelI27subtract_right_partial_tileLj256ELj8ELb0EJPaPiS1_jEEvDpT3_ ; -- Begin function _Z6kernelI27subtract_right_partial_tileLj256ELj8ELb0EJPaPiS1_jEEvDpT3_
	.globl	_Z6kernelI27subtract_right_partial_tileLj256ELj8ELb0EJPaPiS1_jEEvDpT3_
	.p2align	8
	.type	_Z6kernelI27subtract_right_partial_tileLj256ELj8ELb0EJPaPiS1_jEEvDpT3_,@function
_Z6kernelI27subtract_right_partial_tileLj256ELj8ELb0EJPaPiS1_jEEvDpT3_: ; @_Z6kernelI27subtract_right_partial_tileLj256ELj8ELb0EJPaPiS1_jEEvDpT3_
; %bb.0:
	s_clause 0x1
	s_load_b128 s[4:7], s[0:1], 0x0
	s_load_b64 s[2:3], s[0:1], 0x10
	s_lshl_b32 s8, s15, 11
	s_mov_b32 s10, s15
	s_mov_b32 s11, 0
                                        ; implicit-def: $vgpr17
	v_lshlrev_b32_e32 v16, 3, v0
	s_delay_alu instid0(VALU_DEP_1)
	v_or_b32_e32 v3, 3, v16
	v_or_b32_e32 v4, 4, v16
	;; [unrolled: 1-line block ×5, first 2 shown]
	s_waitcnt lgkmcnt(0)
	s_add_u32 s4, s4, s8
	s_addc_u32 s5, s5, 0
	s_clause 0x7
	global_load_u8 v8, v0, s[4:5] offset:256
	global_load_u8 v9, v0, s[4:5] offset:768
	;; [unrolled: 1-line block ×4, first 2 shown]
	global_load_u8 v12, v0, s[4:5]
	global_load_u8 v13, v0, s[4:5] offset:512
	global_load_u8 v14, v0, s[4:5] offset:1024
	;; [unrolled: 1-line block ×3, first 2 shown]
	s_load_b32 s4, s[0:1], 0x18
	s_lshl_b64 s[0:1], s[10:11], 2
	s_delay_alu instid0(SALU_CYCLE_1)
	s_add_u32 s0, s6, s0
	s_addc_u32 s1, s7, s1
	s_load_b32 s0, s[0:1], 0x0
	s_waitcnt lgkmcnt(0)
	v_cvt_f32_u32_e32 v1, s4
	s_sub_i32 s6, 0, s4
	s_delay_alu instid0(VALU_DEP_1) | instskip(SKIP_2) | instid1(VALU_DEP_1)
	v_rcp_iflag_f32_e32 v1, v1
	s_waitcnt_depctr 0xfff
	v_mul_f32_e32 v1, 0x4f7ffffe, v1
	v_cvt_u32_f32_e32 v2, v1
	v_or_b32_e32 v1, 1, v16
	s_delay_alu instid0(VALU_DEP_2) | instskip(SKIP_1) | instid1(VALU_DEP_2)
	v_readfirstlane_b32 s5, v2
	v_or_b32_e32 v2, 2, v16
	s_mul_i32 s6, s6, s5
	s_delay_alu instid0(SALU_CYCLE_1) | instskip(NEXT) | instid1(SALU_CYCLE_1)
	s_mul_hi_u32 s6, s5, s6
	s_add_i32 s5, s5, s6
	s_delay_alu instid0(SALU_CYCLE_1) | instskip(NEXT) | instid1(SALU_CYCLE_1)
	s_lshr_b32 s5, s5, 21
	s_mul_i32 s6, s5, s4
	s_add_i32 s7, s5, 1
	s_sub_i32 s6, 0x800, s6
	s_delay_alu instid0(SALU_CYCLE_1)
	s_sub_i32 s9, s6, s4
	s_cmp_ge_u32 s6, s4
	s_cselect_b32 s1, s7, s5
	s_cselect_b32 s5, s9, s6
	s_add_i32 s6, s1, 1
	s_cmp_ge_u32 s5, s4
	s_cselect_b32 s1, s6, s1
	s_max_u32 s4, s4, 1
	s_add_i32 s1, s1, 1
	s_waitcnt vmcnt(7)
	v_lshlrev_b16 v8, 8, v8
	s_waitcnt vmcnt(6)
	v_lshlrev_b16 v9, 8, v9
	;; [unrolled: 2-line block ×4, first 2 shown]
	s_waitcnt vmcnt(3)
	v_or_b32_e32 v8, v12, v8
	s_waitcnt vmcnt(2)
	v_or_b32_e32 v9, v13, v9
	;; [unrolled: 2-line block ×4, first 2 shown]
                                        ; implicit-def: $vgpr14
	v_and_b32_e32 v12, 0xffff, v8
	v_lshlrev_b32_e32 v9, 16, v9
	v_and_b32_e32 v13, 0xffff, v10
	s_delay_alu instid0(VALU_DEP_4) | instskip(SKIP_1) | instid1(VALU_DEP_4)
	v_lshlrev_b32_e32 v11, 16, v11
	v_add_nc_u32_e32 v8, 8, v16
                                        ; implicit-def: $vgpr16
	v_or_b32_e32 v10, v12, v9
	s_delay_alu instid0(VALU_DEP_3)
	v_or_b32_e32 v9, v13, v11
	s_branch .LBB195_2
.LBB195_1:                              ;   in Loop: Header=BB195_2 Depth=1
	s_or_b32 exec_lo, exec_lo, s5
	v_lshrrev_b32_e32 v20, 8, v19
	v_lshrrev_b32_e32 v22, 16, v19
	;; [unrolled: 1-line block ×3, first 2 shown]
	v_add_nc_u16 v18, v19, v10
	v_lshrrev_b32_e32 v10, 24, v19
	v_add_nc_u16 v19, v20, v17
	v_lshrrev_b32_e32 v17, 8, v21
	;; [unrolled: 2-line block ×3, first 2 shown]
	v_add_nc_u16 v13, v10, v13
	v_add_nc_u16 v21, v21, v9
	;; [unrolled: 1-line block ×5, first 2 shown]
	v_and_b32_e32 v9, 0xff, v18
	v_lshlrev_b16 v10, 8, v19
	v_lshlrev_b16 v22, 8, v13
	v_and_b32_e32 v23, 0xff, v20
	v_and_b32_e32 v24, 0xff, v21
	v_lshlrev_b16 v25, 8, v11
	v_lshlrev_b16 v26, 8, v15
	v_and_b32_e32 v27, 0xff, v12
	v_or_b32_e32 v9, v9, v10
	v_or_b32_e32 v10, v23, v22
	;; [unrolled: 1-line block ×3, first 2 shown]
	s_add_i32 s0, s1, s0
	v_or_b32_e32 v23, v27, v26
	v_and_b32_e32 v9, 0xffff, v9
	v_lshlrev_b32_e32 v10, 16, v10
	v_and_b32_e32 v22, 0xffff, v22
	s_add_i32 s4, s4, -1
	v_lshlrev_b32_e32 v23, 16, v23
	s_and_b32 s0, s0, 0x7ff
	v_or_b32_e32 v10, v9, v10
	s_cmp_lg_u32 s4, 0
	s_delay_alu instid0(VALU_DEP_2)
	v_or_b32_e32 v9, v22, v23
	s_barrier
	buffer_gl0_inv
	s_cbranch_scc0 .LBB195_4
.LBB195_2:                              ; =>This Inner Loop Header: Depth=1
	s_delay_alu instid0(VALU_DEP_1)
	v_lshrrev_b32_e32 v11, 8, v9
	v_and_b32_e32 v13, 0xff, v9
	v_lshlrev_b16 v14, 8, v14
	v_cmp_gt_u32_e32 vcc_lo, s0, v5
	v_and_b32_e32 v15, 0xff, v16
	v_sub_nc_u16 v12, v9, v11
	v_lshlrev_b16 v16, 8, v17
	v_and_b32_e32 v18, 0xffffff00, v9
	s_mov_b32 s5, exec_lo
	v_or_b32_e32 v14, v15, v14
	v_and_b32_e32 v12, 0xff, v12
	v_or_b32_e32 v13, v13, v16
	ds_store_b8 v0, v10 offset:256
	s_waitcnt lgkmcnt(0)
	v_lshlrev_b32_e32 v14, 16, v14
	v_or_b32_e32 v12, v12, v16
	v_and_b32_e32 v13, 0xffff, v13
	s_barrier
	buffer_gl0_inv
	v_and_b32_e32 v15, 0xffff, v12
	v_lshrrev_b32_e32 v12, 16, v9
	v_or_b32_e32 v13, v13, v14
	s_delay_alu instid0(VALU_DEP_3) | instskip(NEXT) | instid1(VALU_DEP_3)
	v_or_b32_e32 v14, v15, v14
	v_sub_nc_u16 v15, v11, v12
	s_delay_alu instid0(VALU_DEP_2) | instskip(NEXT) | instid1(VALU_DEP_2)
	v_cndmask_b32_e32 v16, v13, v14, vcc_lo
	v_lshlrev_b16 v15, 8, v15
	v_cmp_gt_u32_e32 vcc_lo, s0, v6
	v_lshrrev_b32_e32 v14, 16, v10
	v_lshrrev_b32_e32 v13, 24, v10
	v_and_b32_e32 v17, 0xff, v16
	v_and_b32_e32 v16, 0xffff0000, v16
	s_delay_alu instid0(VALU_DEP_4) | instskip(NEXT) | instid1(VALU_DEP_4)
	v_and_b32_e32 v21, 0xffffff00, v14
	v_sub_nc_u16 v22, v14, v13
	s_delay_alu instid0(VALU_DEP_4) | instskip(SKIP_3) | instid1(VALU_DEP_4)
	v_or_b32_e32 v15, v17, v15
	v_or_b32_e32 v18, v17, v18
	v_lshrrev_b32_e32 v17, 8, v10
	v_sub_nc_u16 v24, v13, v9
	v_and_b32_e32 v20, 0xffff, v15
	s_delay_alu instid0(VALU_DEP_4)
	v_and_b32_e32 v18, 0xffff, v18
	v_lshrrev_b32_e32 v15, 24, v9
	v_sub_nc_u16 v23, v17, v14
	v_lshlrev_b16 v24, 8, v24
	v_or_b32_e32 v20, v20, v16
	v_or_b32_e32 v16, v18, v16
	v_sub_nc_u16 v18, v10, v17
	v_sub_nc_u16 v25, v12, v15
	v_lshlrev_b16 v23, 8, v23
	s_delay_alu instid0(VALU_DEP_4) | instskip(SKIP_3) | instid1(VALU_DEP_4)
	v_cndmask_b32_e32 v16, v16, v20, vcc_lo
	v_and_b32_e32 v20, 0xff, v12
	v_cmp_gt_u32_e32 vcc_lo, s0, v3
	v_and_b32_e32 v25, 0xff, v25
	v_lshrrev_b32_e32 v26, 16, v16
	v_and_b32_e32 v16, 0xffff, v16
	v_cndmask_b32_e32 v22, v14, v22, vcc_lo
	v_cmp_gt_u32_e32 vcc_lo, s0, v1
	s_delay_alu instid0(VALU_DEP_4) | instskip(NEXT) | instid1(VALU_DEP_3)
	v_and_b32_e32 v26, 0xffffff00, v26
	v_and_b32_e32 v22, 0xff, v22
	v_cndmask_b32_e32 v18, v10, v18, vcc_lo
	v_cmp_gt_u32_e32 vcc_lo, s0, v4
	s_delay_alu instid0(VALU_DEP_4) | instskip(SKIP_4) | instid1(VALU_DEP_1)
	v_or_b32_e32 v20, v20, v26
	v_or_b32_e32 v25, v25, v26
	v_or_b32_e32 v21, v22, v21
	v_and_b32_e32 v18, 0xff, v18
	v_or_b32_e32 v22, v22, v24
	v_dual_cndmask_b32 v21, v21, v22 :: v_dual_lshlrev_b32 v20, 16, v20
	s_delay_alu instid0(VALU_DEP_1) | instskip(SKIP_2) | instid1(VALU_DEP_2)
	v_or_b32_e32 v20, v16, v20
	v_and_b32_e32 v19, 0xffffff00, v10
	v_cmp_gt_u32_e32 vcc_lo, s0, v2
	v_or_b32_e32 v19, v18, v19
	v_or_b32_e32 v18, v18, v23
	v_lshlrev_b32_e32 v23, 16, v25
	s_delay_alu instid0(VALU_DEP_3) | instskip(NEXT) | instid1(VALU_DEP_3)
	v_and_b32_e32 v19, 0xffff, v19
	v_and_b32_e32 v18, 0xffff, v18
	s_delay_alu instid0(VALU_DEP_3) | instskip(NEXT) | instid1(VALU_DEP_2)
	v_or_b32_e32 v16, v16, v23
	v_cndmask_b32_e32 v18, v19, v18, vcc_lo
	v_cmp_gt_u32_e32 vcc_lo, s0, v7
	s_delay_alu instid0(VALU_DEP_2) | instskip(NEXT) | instid1(VALU_DEP_4)
	v_lshl_or_b32 v19, v21, 16, v18
	v_cndmask_b32_e32 v16, v20, v16, vcc_lo
	s_delay_alu instid0(VALU_DEP_1)
	v_perm_b32 v21, v16, v9, 0x3060504
	v_cmpx_gt_u32_e64 s0, v8
	s_cbranch_execz .LBB195_1
; %bb.3:                                ;   in Loop: Header=BB195_2 Depth=1
	ds_load_u8 v16, v0 offset:257
	v_lshrrev_b32_e32 v18, 8, v21
	v_lshrrev_b32_e32 v20, 16, v21
	v_and_b32_e32 v21, 0xff, v21
	v_perm_b32 v19, v19, v19, 0x3020104
	s_delay_alu instid0(VALU_DEP_4) | instskip(NEXT) | instid1(VALU_DEP_4)
	v_lshlrev_b16 v18, 8, v18
	v_and_b32_e32 v20, 0xff, v20
	s_delay_alu instid0(VALU_DEP_2) | instskip(NEXT) | instid1(VALU_DEP_1)
	v_or_b32_e32 v18, v21, v18
	v_and_b32_e32 v18, 0xffff, v18
	s_waitcnt lgkmcnt(0)
	v_sub_nc_u16 v16, v15, v16
	s_delay_alu instid0(VALU_DEP_1) | instskip(NEXT) | instid1(VALU_DEP_1)
	v_lshlrev_b16 v16, 8, v16
	v_or_b32_e32 v16, v20, v16
	s_delay_alu instid0(VALU_DEP_1) | instskip(NEXT) | instid1(VALU_DEP_1)
	v_lshlrev_b32_e32 v16, 16, v16
	v_or_b32_e32 v21, v18, v16
	s_branch .LBB195_1
.LBB195_4:
	s_add_u32 s0, s2, s8
	s_addc_u32 s1, s3, 0
	v_add_co_u32 v0, s0, s0, v0
	s_delay_alu instid0(VALU_DEP_1)
	v_add_co_ci_u32_e64 v1, null, s1, 0, s0
	s_clause 0x7
	global_store_b8 v[0:1], v18, off
	global_store_b8 v[0:1], v19, off offset:256
	global_store_b8 v[0:1], v20, off offset:512
	;; [unrolled: 1-line block ×7, first 2 shown]
	s_nop 0
	s_sendmsg sendmsg(MSG_DEALLOC_VGPRS)
	s_endpgm
	.section	.rodata,"a",@progbits
	.p2align	6, 0x0
	.amdhsa_kernel _Z6kernelI27subtract_right_partial_tileLj256ELj8ELb0EJPaPiS1_jEEvDpT3_
		.amdhsa_group_segment_fixed_size 512
		.amdhsa_private_segment_fixed_size 0
		.amdhsa_kernarg_size 28
		.amdhsa_user_sgpr_count 15
		.amdhsa_user_sgpr_dispatch_ptr 0
		.amdhsa_user_sgpr_queue_ptr 0
		.amdhsa_user_sgpr_kernarg_segment_ptr 1
		.amdhsa_user_sgpr_dispatch_id 0
		.amdhsa_user_sgpr_private_segment_size 0
		.amdhsa_wavefront_size32 1
		.amdhsa_uses_dynamic_stack 0
		.amdhsa_enable_private_segment 0
		.amdhsa_system_sgpr_workgroup_id_x 1
		.amdhsa_system_sgpr_workgroup_id_y 0
		.amdhsa_system_sgpr_workgroup_id_z 0
		.amdhsa_system_sgpr_workgroup_info 0
		.amdhsa_system_vgpr_workitem_id 0
		.amdhsa_next_free_vgpr 28
		.amdhsa_next_free_sgpr 16
		.amdhsa_reserve_vcc 1
		.amdhsa_float_round_mode_32 0
		.amdhsa_float_round_mode_16_64 0
		.amdhsa_float_denorm_mode_32 3
		.amdhsa_float_denorm_mode_16_64 3
		.amdhsa_dx10_clamp 1
		.amdhsa_ieee_mode 1
		.amdhsa_fp16_overflow 0
		.amdhsa_workgroup_processor_mode 1
		.amdhsa_memory_ordered 1
		.amdhsa_forward_progress 0
		.amdhsa_shared_vgpr_count 0
		.amdhsa_exception_fp_ieee_invalid_op 0
		.amdhsa_exception_fp_denorm_src 0
		.amdhsa_exception_fp_ieee_div_zero 0
		.amdhsa_exception_fp_ieee_overflow 0
		.amdhsa_exception_fp_ieee_underflow 0
		.amdhsa_exception_fp_ieee_inexact 0
		.amdhsa_exception_int_div_zero 0
	.end_amdhsa_kernel
	.section	.text._Z6kernelI27subtract_right_partial_tileLj256ELj8ELb0EJPaPiS1_jEEvDpT3_,"axG",@progbits,_Z6kernelI27subtract_right_partial_tileLj256ELj8ELb0EJPaPiS1_jEEvDpT3_,comdat
.Lfunc_end195:
	.size	_Z6kernelI27subtract_right_partial_tileLj256ELj8ELb0EJPaPiS1_jEEvDpT3_, .Lfunc_end195-_Z6kernelI27subtract_right_partial_tileLj256ELj8ELb0EJPaPiS1_jEEvDpT3_
                                        ; -- End function
	.section	.AMDGPU.csdata,"",@progbits
; Kernel info:
; codeLenInByte = 1436
; NumSgprs: 18
; NumVgprs: 28
; ScratchSize: 0
; MemoryBound: 0
; FloatMode: 240
; IeeeMode: 1
; LDSByteSize: 512 bytes/workgroup (compile time only)
; SGPRBlocks: 2
; VGPRBlocks: 3
; NumSGPRsForWavesPerEU: 18
; NumVGPRsForWavesPerEU: 28
; Occupancy: 16
; WaveLimiterHint : 1
; COMPUTE_PGM_RSRC2:SCRATCH_EN: 0
; COMPUTE_PGM_RSRC2:USER_SGPR: 15
; COMPUTE_PGM_RSRC2:TRAP_HANDLER: 0
; COMPUTE_PGM_RSRC2:TGID_X_EN: 1
; COMPUTE_PGM_RSRC2:TGID_Y_EN: 0
; COMPUTE_PGM_RSRC2:TGID_Z_EN: 0
; COMPUTE_PGM_RSRC2:TIDIG_COMP_CNT: 0
	.section	.text._Z6kernelI27subtract_right_partial_tileLj256ELj16ELb0EJPaPiS1_jEEvDpT3_,"axG",@progbits,_Z6kernelI27subtract_right_partial_tileLj256ELj16ELb0EJPaPiS1_jEEvDpT3_,comdat
	.protected	_Z6kernelI27subtract_right_partial_tileLj256ELj16ELb0EJPaPiS1_jEEvDpT3_ ; -- Begin function _Z6kernelI27subtract_right_partial_tileLj256ELj16ELb0EJPaPiS1_jEEvDpT3_
	.globl	_Z6kernelI27subtract_right_partial_tileLj256ELj16ELb0EJPaPiS1_jEEvDpT3_
	.p2align	8
	.type	_Z6kernelI27subtract_right_partial_tileLj256ELj16ELb0EJPaPiS1_jEEvDpT3_,@function
_Z6kernelI27subtract_right_partial_tileLj256ELj16ELb0EJPaPiS1_jEEvDpT3_: ; @_Z6kernelI27subtract_right_partial_tileLj256ELj16ELb0EJPaPiS1_jEEvDpT3_
; %bb.0:
	s_clause 0x1
	s_load_b128 s[4:7], s[0:1], 0x0
	s_load_b64 s[2:3], s[0:1], 0x10
	s_lshl_b32 s8, s15, 12
	s_mov_b32 s10, s15
	s_mov_b32 s11, 0
	v_lshlrev_b32_e32 v16, 4, v0
                                        ; implicit-def: $vgpr34
                                        ; implicit-def: $vgpr36
                                        ; implicit-def: $vgpr33
	s_delay_alu instid0(VALU_DEP_1)
	v_or_b32_e32 v2, 2, v16
	v_or_b32_e32 v3, 3, v16
	;; [unrolled: 1-line block ×10, first 2 shown]
	s_waitcnt lgkmcnt(0)
	s_add_u32 s4, s4, s8
	s_addc_u32 s5, s5, 0
	v_or_b32_e32 v15, 15, v16
	s_clause 0xf
	global_load_u8 v17, v0, s[4:5] offset:256
	global_load_u8 v18, v0, s[4:5] offset:768
	;; [unrolled: 1-line block ×8, first 2 shown]
	global_load_u8 v25, v0, s[4:5]
	global_load_u8 v26, v0, s[4:5] offset:512
	global_load_u8 v27, v0, s[4:5] offset:1024
	;; [unrolled: 1-line block ×7, first 2 shown]
	s_load_b32 s4, s[0:1], 0x18
	s_lshl_b64 s[0:1], s[10:11], 2
	s_delay_alu instid0(SALU_CYCLE_1)
	s_add_u32 s0, s6, s0
	s_addc_u32 s1, s7, s1
	s_load_b32 s0, s[0:1], 0x0
	s_waitcnt lgkmcnt(0)
	v_cvt_f32_u32_e32 v1, s4
	s_sub_i32 s6, 0, s4
	s_delay_alu instid0(VALU_DEP_1) | instskip(SKIP_4) | instid1(VALU_DEP_2)
	v_rcp_iflag_f32_e32 v4, v1
	v_or_b32_e32 v1, 1, v16
	s_waitcnt_depctr 0xfff
	v_mul_f32_e32 v8, 0x4f7ffffe, v4
	v_or_b32_e32 v4, 4, v16
	v_cvt_u32_f32_e32 v11, v8
	v_or_b32_e32 v8, 8, v16
	s_delay_alu instid0(VALU_DEP_2) | instskip(SKIP_2) | instid1(VALU_DEP_3)
	v_readfirstlane_b32 s5, v11
	v_or_b32_e32 v11, 11, v16
	v_add_nc_u32_e32 v16, 16, v16
	s_mul_i32 s6, s6, s5
	s_delay_alu instid0(SALU_CYCLE_1) | instskip(NEXT) | instid1(SALU_CYCLE_1)
	s_mul_hi_u32 s6, s5, s6
	s_add_i32 s5, s5, s6
	s_delay_alu instid0(SALU_CYCLE_1) | instskip(NEXT) | instid1(SALU_CYCLE_1)
	s_lshr_b32 s5, s5, 20
	s_mul_i32 s6, s5, s4
	s_add_i32 s7, s5, 1
	s_sub_i32 s6, 0x1000, s6
	s_delay_alu instid0(SALU_CYCLE_1)
	s_sub_i32 s9, s6, s4
	s_cmp_ge_u32 s6, s4
	s_cselect_b32 s1, s7, s5
	s_cselect_b32 s5, s9, s6
	s_add_i32 s6, s1, 1
	s_cmp_ge_u32 s5, s4
	s_cselect_b32 s1, s6, s1
	s_max_u32 s4, s4, 1
	s_add_i32 s1, s1, 1
	s_waitcnt vmcnt(15)
	v_lshlrev_b16 v17, 8, v17
	s_waitcnt vmcnt(14)
	v_lshlrev_b16 v18, 8, v18
	;; [unrolled: 2-line block ×8, first 2 shown]
	s_waitcnt vmcnt(7)
	v_or_b32_e32 v17, v25, v17
	s_waitcnt vmcnt(6)
	v_or_b32_e32 v18, v26, v18
	;; [unrolled: 2-line block ×8, first 2 shown]
	v_and_b32_e32 v17, 0xffff, v17
	v_lshlrev_b32_e32 v18, 16, v18
	v_and_b32_e32 v19, 0xffff, v19
	v_lshlrev_b32_e32 v25, 16, v20
	;; [unrolled: 2-line block ×4, first 2 shown]
	v_or_b32_e32 v20, v17, v18
	v_or_b32_e32 v19, v19, v25
	;; [unrolled: 1-line block ×3, first 2 shown]
                                        ; implicit-def: $vgpr32
                                        ; implicit-def: $vgpr31
	s_delay_alu instid0(VALU_DEP_4)
	v_or_b32_e32 v17, v23, v24
                                        ; implicit-def: $vgpr24
	s_branch .LBB196_2
.LBB196_1:                              ;   in Loop: Header=BB196_2 Depth=1
	s_or_b32 exec_lo, exec_lo, s5
	v_lshrrev_b32_e32 v39, 16, v36
	v_lshrrev_b32_e32 v38, 8, v36
	;; [unrolled: 1-line block ×5, first 2 shown]
	v_add_nc_u16 v22, v39, v22
	v_add_nc_u16 v38, v38, v24
	v_lshrrev_b32_e32 v24, 8, v32
	v_add_nc_u16 v39, v32, v19
	v_lshrrev_b32_e32 v19, 8, v40
	v_lshrrev_b32_e32 v31, 16, v43
	v_add_nc_u16 v37, v36, v20
	v_add_nc_u16 v23, v41, v23
	v_lshrrev_b32_e32 v36, 24, v32
	v_add_nc_u16 v21, v24, v21
	v_lshrrev_b32_e32 v20, 24, v40
	v_lshrrev_b32_e32 v32, 8, v43
	v_add_nc_u16 v41, v19, v33
	v_lshrrev_b32_e32 v33, 24, v43
	v_add_nc_u16 v25, v34, v25
	v_add_nc_u16 v26, v36, v26
	;; [unrolled: 1-line block ×7, first 2 shown]
	v_and_b32_e32 v17, 0xff, v37
	v_lshlrev_b16 v18, 8, v38
	v_lshlrev_b16 v19, 8, v23
	v_and_b32_e32 v20, 0xff, v22
	v_and_b32_e32 v44, 0xff, v39
	v_lshlrev_b16 v45, 8, v21
	v_add_nc_u16 v30, v31, v30
	v_add_nc_u16 v35, v33, v35
	v_or_b32_e32 v17, v17, v18
	v_or_b32_e32 v18, v20, v19
	;; [unrolled: 1-line block ×3, first 2 shown]
	v_lshlrev_b16 v20, 8, v26
	v_and_b32_e32 v43, 0xff, v25
	v_and_b32_e32 v44, 0xff, v40
	v_lshlrev_b16 v45, 8, v41
	v_lshlrev_b16 v46, 8, v28
	v_and_b32_e32 v47, 0xff, v27
	v_and_b32_e32 v48, 0xff, v42
	v_lshlrev_b16 v49, 8, v29
	v_lshlrev_b16 v50, 8, v35
	v_and_b32_e32 v51, 0xff, v30
	v_or_b32_e32 v20, v43, v20
	v_or_b32_e32 v43, v44, v45
	;; [unrolled: 1-line block ×5, first 2 shown]
	v_and_b32_e32 v17, 0xffff, v17
	v_lshlrev_b32_e32 v18, 16, v18
	v_and_b32_e32 v19, 0xffff, v19
	v_lshlrev_b32_e32 v47, 16, v20
	;; [unrolled: 2-line block ×4, first 2 shown]
	s_add_i32 s0, s1, s0
	v_or_b32_e32 v20, v17, v18
	v_or_b32_e32 v19, v19, v47
	;; [unrolled: 1-line block ×4, first 2 shown]
	s_add_i32 s4, s4, -1
	s_and_b32 s0, s0, 0xfff
	s_cmp_lg_u32 s4, 0
	s_barrier
	buffer_gl0_inv
	s_cbranch_scc0 .LBB196_4
.LBB196_2:                              ; =>This Inner Loop Header: Depth=1
	s_delay_alu instid0(VALU_DEP_3)
	v_lshrrev_b32_e32 v21, 8, v19
	v_lshlrev_b16 v29, 8, v24
	v_lshrrev_b32_e32 v24, 8, v20
	v_and_b32_e32 v37, 0xff, v17
	v_and_b32_e32 v31, 0xff, v31
	v_sub_nc_u16 v25, v19, v21
	v_lshlrev_b16 v33, 8, v33
	v_lshlrev_b16 v32, 8, v32
	v_and_b32_e32 v26, 0xff, v19
	v_lshlrev_b16 v28, 8, v36
	v_cmp_gt_u32_e32 vcc_lo, s0, v5
	v_and_b32_e32 v27, 0xff, v34
	v_sub_nc_u16 v42, v20, v24
	v_and_b32_e32 v25, 0xff, v25
	v_or_b32_e32 v31, v31, v33
	v_or_b32_e32 v37, v37, v32
	;; [unrolled: 1-line block ×5, first 2 shown]
	v_lshlrev_b32_e32 v31, 16, v31
	v_and_b32_e32 v37, 0xffff, v37
	v_lshlrev_b32_e32 v29, 16, v27
	v_and_b32_e32 v30, 0xffff, v26
	v_lshrrev_b32_e32 v25, 16, v19
	v_lshrrev_b32_e32 v27, 16, v18
	v_or_b32_e32 v37, v37, v31
	v_and_b32_e32 v36, 0xffff, v28
	v_or_b32_e32 v30, v30, v29
	v_sub_nc_u16 v38, v21, v25
	v_and_b32_e32 v35, 0xffffff00, v19
	v_lshrrev_b32_e32 v26, 24, v19
	v_or_b32_e32 v36, v36, v29
	v_lshrrev_b32_e32 v22, 16, v20
	v_lshlrev_b16 v38, 8, v38
	v_lshrrev_b32_e32 v23, 24, v20
	v_sub_nc_u16 v46, v25, v26
	v_cndmask_b32_e32 v36, v30, v36, vcc_lo
	v_cmp_gt_u32_e32 vcc_lo, s0, v6
	v_lshrrev_b32_e32 v29, 8, v17
	v_sub_nc_u16 v41, v22, v23
	v_and_b32_e32 v45, 0xff, v25
	v_and_b32_e32 v39, 0xff, v36
	;; [unrolled: 1-line block ×4, first 2 shown]
	v_lshrrev_b32_e32 v28, 24, v18
	v_sub_nc_u16 v33, v17, v29
	v_or_b32_e32 v38, v39, v38
	v_or_b32_e32 v35, v39, v35
	v_sub_nc_u16 v43, v23, v19
	v_and_b32_e32 v40, 0xffffff00, v22
	v_and_b32_e32 v33, 0xff, v33
	;; [unrolled: 1-line block ×4, first 2 shown]
	v_sub_nc_u16 v39, v24, v22
	v_lshlrev_b16 v43, 8, v43
	v_or_b32_e32 v32, v33, v32
	v_or_b32_e32 v38, v38, v36
	;; [unrolled: 1-line block ×3, first 2 shown]
	v_sub_nc_u16 v36, v27, v28
	v_lshlrev_b16 v39, 8, v39
	v_and_b32_e32 v32, 0xffff, v32
	v_lshrrev_b32_e32 v30, 16, v17
	v_cndmask_b32_e32 v35, v35, v38, vcc_lo
	v_cmp_gt_u32_e32 vcc_lo, s0, v3
	v_and_b32_e32 v34, 0xffffff00, v20
	v_or_b32_e32 v31, v32, v31
	v_sub_nc_u16 v38, v29, v30
	v_lshrrev_b32_e32 v47, 16, v35
	v_cndmask_b32_e32 v41, v22, v41, vcc_lo
	v_cmp_gt_u32_e32 vcc_lo, s0, v1
	v_and_b32_e32 v35, 0xffff, v35
	v_lshlrev_b16 v38, 8, v38
	v_and_b32_e32 v47, 0xffffff00, v47
	v_dual_cndmask_b32 v42, v20, v42 :: v_dual_and_b32 v41, 0xff, v41
	v_cmp_gt_u32_e32 vcc_lo, s0, v11
	v_and_b32_e32 v44, 0xffffff00, v25
	s_delay_alu instid0(VALU_DEP_4)
	v_or_b32_e32 v45, v45, v47
	v_or_b32_e32 v46, v46, v47
	v_and_b32_e32 v42, 0xff, v42
	v_cndmask_b32_e32 v36, v27, v36, vcc_lo
	v_cmp_gt_u32_e32 vcc_lo, s0, v7
	v_lshlrev_b32_e32 v45, 16, v45
	v_lshlrev_b32_e32 v46, 16, v46
	v_or_b32_e32 v40, v41, v40
	v_or_b32_e32 v34, v42, v34
	v_and_b32_e32 v47, 0xff, v30
	v_or_b32_e32 v33, v35, v45
	v_or_b32_e32 v35, v35, v46
	v_sub_nc_u16 v46, v26, v18
	v_and_b32_e32 v34, 0xffff, v34
	v_and_b32_e32 v36, 0xff, v36
	s_mov_b32 s5, exec_lo
	v_cndmask_b32_e32 v45, v33, v35, vcc_lo
	v_or_b32_e32 v35, v41, v43
	v_cmp_gt_u32_e32 vcc_lo, s0, v4
	v_or_b32_e32 v33, v42, v39
	v_and_b32_e32 v43, 0xffffff00, v18
	v_lshrrev_b32_e32 v39, 16, v45
	v_and_b32_e32 v41, 0xffffff00, v27
	v_cndmask_b32_e32 v32, v40, v35, vcc_lo
	v_cmp_gt_u32_e32 vcc_lo, s0, v13
	v_and_b32_e32 v33, 0xffff, v33
	v_and_b32_e32 v35, 0xffffff00, v17
	v_and_b32_e32 v39, 0xff, v39
	v_lshlrev_b16 v46, 8, v46
	v_cndmask_b32_e32 v31, v37, v31, vcc_lo
	v_cmp_gt_u32_e32 vcc_lo, s0, v2
	v_or_b32_e32 v41, v36, v41
	v_or_b32_e32 v37, v39, v44
	;; [unrolled: 1-line block ×3, first 2 shown]
	v_and_b32_e32 v40, 0xff, v31
	v_cndmask_b32_e32 v34, v34, v33, vcc_lo
	v_lshrrev_b32_e32 v33, 8, v18
	v_cmp_gt_u32_e32 vcc_lo, s0, v9
	v_and_b32_e32 v31, 0xffff0000, v31
	v_or_b32_e32 v35, v40, v35
	v_or_b32_e32 v38, v40, v38
	v_sub_nc_u16 v42, v18, v33
	v_lshlrev_b32_e32 v37, 16, v37
	v_lshlrev_b32_e32 v39, 16, v39
	v_and_b32_e32 v35, 0xffff, v35
	v_and_b32_e32 v38, 0xffff, v38
	v_cndmask_b32_e32 v40, v18, v42, vcc_lo
	v_sub_nc_u16 v42, v33, v27
	v_cmp_gt_u32_e32 vcc_lo, s0, v14
	v_lshl_or_b32 v34, v32, 16, v34
	v_or_b32_e32 v38, v38, v31
	v_and_b32_e32 v40, 0xff, v40
	v_or_b32_e32 v31, v35, v31
	v_lshlrev_b16 v42, 8, v42
	v_lshrrev_b32_e32 v35, 24, v17
	ds_store_b8 v0, v20 offset:256
	v_or_b32_e32 v43, v40, v43
	v_cndmask_b32_e32 v31, v31, v38, vcc_lo
	v_or_b32_e32 v40, v40, v42
	v_sub_nc_u16 v44, v30, v35
	v_sub_nc_u16 v42, v28, v17
	v_and_b32_e32 v38, 0xffff, v43
	v_lshrrev_b32_e32 v43, 16, v31
	v_and_b32_e32 v40, 0xffff, v40
	v_and_b32_e32 v44, 0xff, v44
	v_cmp_gt_u32_e32 vcc_lo, s0, v10
	v_lshlrev_b16 v42, 8, v42
	v_and_b32_e32 v43, 0xffffff00, v43
	v_and_b32_e32 v31, 0xffff, v31
	s_waitcnt lgkmcnt(0)
	v_cndmask_b32_e32 v38, v38, v40, vcc_lo
	v_or_b32_e32 v36, v36, v42
	v_or_b32_e32 v40, v47, v43
	;; [unrolled: 1-line block ×3, first 2 shown]
	v_cmp_gt_u32_e32 vcc_lo, s0, v12
	s_barrier
	buffer_gl0_inv
	v_lshlrev_b32_e32 v40, 16, v40
	v_lshlrev_b32_e32 v42, 16, v43
	v_dual_cndmask_b32 v36, v41, v36 :: v_dual_and_b32 v43, 0xffff, v45
	v_cmp_gt_u32_e32 vcc_lo, s0, v15
	s_delay_alu instid0(VALU_DEP_4) | instskip(NEXT) | instid1(VALU_DEP_4)
	v_or_b32_e32 v40, v31, v40
	v_or_b32_e32 v31, v31, v42
	s_delay_alu instid0(VALU_DEP_4) | instskip(SKIP_1) | instid1(VALU_DEP_3)
	v_or_b32_e32 v37, v43, v37
	v_or_b32_e32 v39, v43, v39
	v_cndmask_b32_e32 v40, v40, v31, vcc_lo
	v_lshl_or_b32 v31, v36, 16, v38
	v_cmp_gt_u32_e32 vcc_lo, s0, v8
	v_perm_b32 v36, v34, v34, 0x3020104
	s_delay_alu instid0(VALU_DEP_4) | instskip(NEXT) | instid1(VALU_DEP_4)
	v_perm_b32 v43, v40, v17, 0x3060504
	v_perm_b32 v40, v31, v31, 0x3020104
	v_cndmask_b32_e32 v32, v37, v39, vcc_lo
	v_cmpx_gt_u32_e64 s0, v16
	s_cbranch_execz .LBB196_1
; %bb.3:                                ;   in Loop: Header=BB196_2 Depth=1
	ds_load_u8 v36, v0 offset:257
	v_lshrrev_b32_e32 v38, 16, v43
	v_lshrrev_b32_e32 v37, 8, v43
	v_dual_mov_b32 v40, v31 :: v_dual_and_b32 v39, 0xff, v43
	s_delay_alu instid0(VALU_DEP_3) | instskip(NEXT) | instid1(VALU_DEP_3)
	v_and_b32_e32 v38, 0xff, v38
	v_lshlrev_b16 v37, 8, v37
	s_waitcnt lgkmcnt(0)
	v_sub_nc_u16 v36, v35, v36
	s_delay_alu instid0(VALU_DEP_1) | instskip(NEXT) | instid1(VALU_DEP_1)
	v_lshlrev_b16 v36, 8, v36
	v_or_b32_e32 v36, v38, v36
	s_delay_alu instid0(VALU_DEP_1) | instskip(SKIP_2) | instid1(VALU_DEP_1)
	v_lshlrev_b32_e32 v38, 16, v36
	v_mov_b32_e32 v36, v34
	v_or_b32_e32 v37, v39, v37
	v_and_b32_e32 v37, 0xffff, v37
	s_delay_alu instid0(VALU_DEP_1)
	v_or_b32_e32 v43, v37, v38
	s_branch .LBB196_1
.LBB196_4:
	s_add_u32 s0, s2, s8
	s_addc_u32 s1, s3, 0
	v_add_co_u32 v0, s0, s0, v0
	s_delay_alu instid0(VALU_DEP_1)
	v_add_co_ci_u32_e64 v1, null, s1, 0, s0
	s_clause 0xf
	global_store_b8 v[0:1], v37, off
	global_store_b8 v[0:1], v38, off offset:256
	global_store_b8 v[0:1], v22, off offset:512
	;; [unrolled: 1-line block ×15, first 2 shown]
	s_nop 0
	s_sendmsg sendmsg(MSG_DEALLOC_VGPRS)
	s_endpgm
	.section	.rodata,"a",@progbits
	.p2align	6, 0x0
	.amdhsa_kernel _Z6kernelI27subtract_right_partial_tileLj256ELj16ELb0EJPaPiS1_jEEvDpT3_
		.amdhsa_group_segment_fixed_size 512
		.amdhsa_private_segment_fixed_size 0
		.amdhsa_kernarg_size 28
		.amdhsa_user_sgpr_count 15
		.amdhsa_user_sgpr_dispatch_ptr 0
		.amdhsa_user_sgpr_queue_ptr 0
		.amdhsa_user_sgpr_kernarg_segment_ptr 1
		.amdhsa_user_sgpr_dispatch_id 0
		.amdhsa_user_sgpr_private_segment_size 0
		.amdhsa_wavefront_size32 1
		.amdhsa_uses_dynamic_stack 0
		.amdhsa_enable_private_segment 0
		.amdhsa_system_sgpr_workgroup_id_x 1
		.amdhsa_system_sgpr_workgroup_id_y 0
		.amdhsa_system_sgpr_workgroup_id_z 0
		.amdhsa_system_sgpr_workgroup_info 0
		.amdhsa_system_vgpr_workitem_id 0
		.amdhsa_next_free_vgpr 52
		.amdhsa_next_free_sgpr 16
		.amdhsa_reserve_vcc 1
		.amdhsa_float_round_mode_32 0
		.amdhsa_float_round_mode_16_64 0
		.amdhsa_float_denorm_mode_32 3
		.amdhsa_float_denorm_mode_16_64 3
		.amdhsa_dx10_clamp 1
		.amdhsa_ieee_mode 1
		.amdhsa_fp16_overflow 0
		.amdhsa_workgroup_processor_mode 1
		.amdhsa_memory_ordered 1
		.amdhsa_forward_progress 0
		.amdhsa_shared_vgpr_count 0
		.amdhsa_exception_fp_ieee_invalid_op 0
		.amdhsa_exception_fp_denorm_src 0
		.amdhsa_exception_fp_ieee_div_zero 0
		.amdhsa_exception_fp_ieee_overflow 0
		.amdhsa_exception_fp_ieee_underflow 0
		.amdhsa_exception_fp_ieee_inexact 0
		.amdhsa_exception_int_div_zero 0
	.end_amdhsa_kernel
	.section	.text._Z6kernelI27subtract_right_partial_tileLj256ELj16ELb0EJPaPiS1_jEEvDpT3_,"axG",@progbits,_Z6kernelI27subtract_right_partial_tileLj256ELj16ELb0EJPaPiS1_jEEvDpT3_,comdat
.Lfunc_end196:
	.size	_Z6kernelI27subtract_right_partial_tileLj256ELj16ELb0EJPaPiS1_jEEvDpT3_, .Lfunc_end196-_Z6kernelI27subtract_right_partial_tileLj256ELj16ELb0EJPaPiS1_jEEvDpT3_
                                        ; -- End function
	.section	.AMDGPU.csdata,"",@progbits
; Kernel info:
; codeLenInByte = 2388
; NumSgprs: 18
; NumVgprs: 52
; ScratchSize: 0
; MemoryBound: 0
; FloatMode: 240
; IeeeMode: 1
; LDSByteSize: 512 bytes/workgroup (compile time only)
; SGPRBlocks: 2
; VGPRBlocks: 6
; NumSGPRsForWavesPerEU: 18
; NumVGPRsForWavesPerEU: 52
; Occupancy: 16
; WaveLimiterHint : 1
; COMPUTE_PGM_RSRC2:SCRATCH_EN: 0
; COMPUTE_PGM_RSRC2:USER_SGPR: 15
; COMPUTE_PGM_RSRC2:TRAP_HANDLER: 0
; COMPUTE_PGM_RSRC2:TGID_X_EN: 1
; COMPUTE_PGM_RSRC2:TGID_Y_EN: 0
; COMPUTE_PGM_RSRC2:TGID_Z_EN: 0
; COMPUTE_PGM_RSRC2:TIDIG_COMP_CNT: 0
	.section	.text._Z6kernelI27subtract_right_partial_tileLj256ELj32ELb0EJPaPiS1_jEEvDpT3_,"axG",@progbits,_Z6kernelI27subtract_right_partial_tileLj256ELj32ELb0EJPaPiS1_jEEvDpT3_,comdat
	.protected	_Z6kernelI27subtract_right_partial_tileLj256ELj32ELb0EJPaPiS1_jEEvDpT3_ ; -- Begin function _Z6kernelI27subtract_right_partial_tileLj256ELj32ELb0EJPaPiS1_jEEvDpT3_
	.globl	_Z6kernelI27subtract_right_partial_tileLj256ELj32ELb0EJPaPiS1_jEEvDpT3_
	.p2align	8
	.type	_Z6kernelI27subtract_right_partial_tileLj256ELj32ELb0EJPaPiS1_jEEvDpT3_,@function
_Z6kernelI27subtract_right_partial_tileLj256ELj32ELb0EJPaPiS1_jEEvDpT3_: ; @_Z6kernelI27subtract_right_partial_tileLj256ELj32ELb0EJPaPiS1_jEEvDpT3_
; %bb.0:
	s_clause 0x1
	s_load_b128 s[4:7], s[0:1], 0x0
	s_load_b64 s[2:3], s[0:1], 0x10
	s_lshl_b32 s8, s15, 13
	s_mov_b32 s10, s15
	s_mov_b32 s11, 0
	v_lshlrev_b32_e32 v64, 5, v0
	s_delay_alu instid0(VALU_DEP_1)
	v_or_b32_e32 v35, 3, v64
	v_or_b32_e32 v36, 4, v64
	;; [unrolled: 1-line block ×10, first 2 shown]
	s_waitcnt lgkmcnt(0)
	s_add_u32 s4, s4, s8
	s_addc_u32 s5, s5, 0
	v_add_co_u32 v1, s9, s4, v0
	s_delay_alu instid0(VALU_DEP_1)
	v_add_co_ci_u32_e64 v2, null, s5, 0, s9
	s_clause 0x7
	global_load_u8 v32, v0, s[4:5]
	global_load_u8 v31, v0, s[4:5] offset:256
	global_load_u8 v30, v0, s[4:5] offset:512
	;; [unrolled: 1-line block ×7, first 2 shown]
	v_add_co_u32 v33, vcc_lo, 0x1000, v1
	v_add_co_ci_u32_e32 v34, vcc_lo, 0, v2, vcc_lo
	s_clause 0x17
	global_load_u8 v24, v0, s[4:5] offset:2048
	global_load_u8 v23, v0, s[4:5] offset:2304
	;; [unrolled: 1-line block ×8, first 2 shown]
	global_load_u8 v16, v[33:34], off
	global_load_u8 v15, v[33:34], off offset:256
	global_load_u8 v14, v[33:34], off offset:512
	;; [unrolled: 1-line block ×15, first 2 shown]
	s_load_b32 s4, s[0:1], 0x18
	s_lshl_b64 s[0:1], s[10:11], 2
	v_or_b32_e32 v34, 2, v64
	s_add_u32 s0, s6, s0
	s_addc_u32 s1, s7, s1
	v_or_b32_e32 v45, 13, v64
	s_load_b32 s0, s[0:1], 0x0
	v_or_b32_e32 v46, 14, v64
	v_or_b32_e32 v47, 15, v64
	;; [unrolled: 1-line block ×13, first 2 shown]
	s_waitcnt lgkmcnt(0)
	v_cvt_f32_u32_e32 v33, s4
	s_sub_i32 s6, 0, s4
	v_or_b32_e32 v59, 27, v64
	v_or_b32_e32 v60, 28, v64
	;; [unrolled: 1-line block ×3, first 2 shown]
	v_rcp_iflag_f32_e32 v33, v33
	v_or_b32_e32 v62, 30, v64
	v_or_b32_e32 v63, 31, v64
	s_waitcnt_depctr 0xfff
	v_mul_f32_e32 v33, 0x4f7ffffe, v33
	s_delay_alu instid0(VALU_DEP_1) | instskip(NEXT) | instid1(VALU_DEP_1)
	v_cvt_u32_f32_e32 v33, v33
	v_readfirstlane_b32 s5, v33
	v_or_b32_e32 v33, 1, v64
	v_add_nc_u32_e32 v64, 32, v64
	s_delay_alu instid0(VALU_DEP_3) | instskip(NEXT) | instid1(SALU_CYCLE_1)
	s_mul_i32 s6, s6, s5
	s_mul_hi_u32 s6, s5, s6
	s_delay_alu instid0(SALU_CYCLE_1) | instskip(NEXT) | instid1(SALU_CYCLE_1)
	s_add_i32 s5, s5, s6
	s_lshr_b32 s5, s5, 19
	s_delay_alu instid0(SALU_CYCLE_1) | instskip(SKIP_2) | instid1(SALU_CYCLE_1)
	s_mul_i32 s6, s5, s4
	s_add_i32 s7, s5, 1
	s_sub_i32 s6, 0x2000, s6
	s_sub_i32 s9, s6, s4
	s_cmp_ge_u32 s6, s4
	s_cselect_b32 s5, s7, s5
	s_cselect_b32 s6, s9, s6
	s_add_i32 s7, s5, 1
	s_cmp_ge_u32 s6, s4
	s_cselect_b32 s1, s7, s5
	s_max_u32 s4, s4, 1
	s_add_i32 s1, s1, 1
	s_branch .LBB197_2
.LBB197_1:                              ;   in Loop: Header=BB197_2 Depth=1
	s_or_b32 exec_lo, exec_lo, s5
	v_cmp_gt_u32_e32 vcc_lo, s0, v33
	s_add_i32 s4, s4, -1
	s_barrier
	buffer_gl0_inv
	v_cndmask_b32_e32 v66, 0, v31, vcc_lo
	v_cmp_gt_u32_e32 vcc_lo, s0, v34
	v_cndmask_b32_e32 v67, 0, v30, vcc_lo
	v_cmp_gt_u32_e32 vcc_lo, s0, v35
	s_delay_alu instid0(VALU_DEP_4) | instskip(NEXT) | instid1(VALU_DEP_3)
	v_sub_nc_u16 v66, v32, v66
	v_sub_nc_u16 v67, v31, v67
	v_cndmask_b32_e32 v68, 0, v29, vcc_lo
	v_cmp_gt_u32_e32 vcc_lo, s0, v36
	s_delay_alu instid0(VALU_DEP_4) | instskip(NEXT) | instid1(VALU_DEP_4)
	v_add_nc_u16 v32, v66, v32
	v_add_nc_u16 v31, v67, v31
	v_cndmask_b32_e32 v69, 0, v28, vcc_lo
	v_cmp_gt_u32_e32 vcc_lo, s0, v37
	v_sub_nc_u16 v68, v30, v68
	s_delay_alu instid0(VALU_DEP_3) | instskip(SKIP_2) | instid1(VALU_DEP_4)
	v_sub_nc_u16 v69, v29, v69
	v_cndmask_b32_e32 v70, 0, v27, vcc_lo
	v_cmp_gt_u32_e32 vcc_lo, s0, v38
	v_add_nc_u16 v30, v68, v30
	s_delay_alu instid0(VALU_DEP_4) | instskip(SKIP_3) | instid1(VALU_DEP_3)
	v_add_nc_u16 v29, v69, v29
	v_cndmask_b32_e32 v71, 0, v26, vcc_lo
	v_cmp_gt_u32_e32 vcc_lo, s0, v39
	v_sub_nc_u16 v70, v28, v70
	v_sub_nc_u16 v71, v27, v71
	v_cndmask_b32_e32 v72, 0, v25, vcc_lo
	v_cmp_gt_u32_e32 vcc_lo, s0, v40
	s_delay_alu instid0(VALU_DEP_4) | instskip(NEXT) | instid1(VALU_DEP_4)
	v_add_nc_u16 v28, v70, v28
	v_add_nc_u16 v27, v71, v27
	v_cndmask_b32_e32 v73, 0, v24, vcc_lo
	v_cmp_gt_u32_e32 vcc_lo, s0, v41
	v_sub_nc_u16 v72, v26, v72
	s_delay_alu instid0(VALU_DEP_3) | instskip(SKIP_2) | instid1(VALU_DEP_4)
	v_sub_nc_u16 v73, v25, v73
	v_cndmask_b32_e32 v74, 0, v23, vcc_lo
	v_cmp_gt_u32_e32 vcc_lo, s0, v42
	v_add_nc_u16 v26, v72, v26
	s_delay_alu instid0(VALU_DEP_4) | instskip(SKIP_3) | instid1(VALU_DEP_3)
	v_add_nc_u16 v25, v73, v25
	v_cndmask_b32_e32 v75, 0, v22, vcc_lo
	v_cmp_gt_u32_e32 vcc_lo, s0, v43
	;; [unrolled: 19-line block ×6, first 2 shown]
	v_sub_nc_u16 v90, v8, v90
	v_sub_nc_u16 v91, v7, v91
	v_cndmask_b32_e32 v92, 0, v5, vcc_lo
	v_cmp_gt_u32_e32 vcc_lo, s0, v60
	s_delay_alu instid0(VALU_DEP_4) | instskip(NEXT) | instid1(VALU_DEP_4)
	v_add_nc_u16 v8, v90, v8
	v_add_nc_u16 v7, v91, v7
	v_cndmask_b32_e32 v93, 0, v4, vcc_lo
	v_cmp_gt_u32_e32 vcc_lo, s0, v61
	v_sub_nc_u16 v92, v6, v92
	s_delay_alu instid0(VALU_DEP_3) | instskip(SKIP_2) | instid1(VALU_DEP_4)
	v_sub_nc_u16 v93, v5, v93
	v_cndmask_b32_e32 v66, 0, v3, vcc_lo
	v_cmp_gt_u32_e32 vcc_lo, s0, v62
	v_add_nc_u16 v6, v92, v6
	s_delay_alu instid0(VALU_DEP_4) | instskip(SKIP_4) | instid1(VALU_DEP_3)
	v_add_nc_u16 v5, v93, v5
	v_cndmask_b32_e32 v67, 0, v2, vcc_lo
	v_cmp_gt_u32_e32 vcc_lo, s0, v63
	v_sub_nc_u16 v66, v4, v66
	s_add_i32 s0, s1, s0
	v_sub_nc_u16 v67, v3, v67
	v_cndmask_b32_e32 v68, 0, v1, vcc_lo
	s_delay_alu instid0(VALU_DEP_3)
	v_add_nc_u16 v4, v66, v4
	v_add_nc_u16 v1, v65, v1
	s_and_b32 s0, s0, 0x1fff
	v_add_nc_u16 v3, v67, v3
	v_sub_nc_u16 v68, v2, v68
	s_cmp_lg_u32 s4, 0
	s_delay_alu instid0(VALU_DEP_1)
	v_add_nc_u16 v2, v68, v2
	s_cbranch_scc0 .LBB197_4
.LBB197_2:                              ; =>This Inner Loop Header: Depth=1
	s_waitcnt vmcnt(0)
	v_mov_b32_e32 v65, v1
	s_mov_b32 s5, exec_lo
	ds_store_b8 v0, v32 offset:256
	s_waitcnt lgkmcnt(0)
	s_barrier
	buffer_gl0_inv
	v_cmpx_gt_u32_e64 s0, v64
	s_cbranch_execz .LBB197_1
; %bb.3:                                ;   in Loop: Header=BB197_2 Depth=1
	ds_load_u8 v65, v0 offset:257
	s_waitcnt lgkmcnt(0)
	v_sub_nc_u16 v65, v1, v65
	s_branch .LBB197_1
.LBB197_4:
	s_add_u32 s0, s2, s8
	s_addc_u32 s1, s3, 0
	v_add_co_u32 v33, s0, s0, v0
	s_delay_alu instid0(VALU_DEP_1)
	v_add_co_ci_u32_e64 v34, null, s1, 0, s0
	s_clause 0x7
	global_store_b8 v[33:34], v32, off
	global_store_b8 v[33:34], v31, off offset:256
	global_store_b8 v[33:34], v30, off offset:512
	;; [unrolled: 1-line block ×7, first 2 shown]
	v_add_co_u32 v25, vcc_lo, 0x1000, v33
	v_add_co_ci_u32_e32 v26, vcc_lo, 0, v34, vcc_lo
	s_clause 0x17
	global_store_b8 v[33:34], v24, off offset:2048
	global_store_b8 v[33:34], v23, off offset:2304
	;; [unrolled: 1-line block ×8, first 2 shown]
	global_store_b8 v[25:26], v16, off
	global_store_b8 v[25:26], v15, off offset:256
	global_store_b8 v[25:26], v14, off offset:512
	;; [unrolled: 1-line block ×15, first 2 shown]
	s_nop 0
	s_sendmsg sendmsg(MSG_DEALLOC_VGPRS)
	s_endpgm
	.section	.rodata,"a",@progbits
	.p2align	6, 0x0
	.amdhsa_kernel _Z6kernelI27subtract_right_partial_tileLj256ELj32ELb0EJPaPiS1_jEEvDpT3_
		.amdhsa_group_segment_fixed_size 512
		.amdhsa_private_segment_fixed_size 0
		.amdhsa_kernarg_size 28
		.amdhsa_user_sgpr_count 15
		.amdhsa_user_sgpr_dispatch_ptr 0
		.amdhsa_user_sgpr_queue_ptr 0
		.amdhsa_user_sgpr_kernarg_segment_ptr 1
		.amdhsa_user_sgpr_dispatch_id 0
		.amdhsa_user_sgpr_private_segment_size 0
		.amdhsa_wavefront_size32 1
		.amdhsa_uses_dynamic_stack 0
		.amdhsa_enable_private_segment 0
		.amdhsa_system_sgpr_workgroup_id_x 1
		.amdhsa_system_sgpr_workgroup_id_y 0
		.amdhsa_system_sgpr_workgroup_id_z 0
		.amdhsa_system_sgpr_workgroup_info 0
		.amdhsa_system_vgpr_workitem_id 0
		.amdhsa_next_free_vgpr 94
		.amdhsa_next_free_sgpr 16
		.amdhsa_reserve_vcc 1
		.amdhsa_float_round_mode_32 0
		.amdhsa_float_round_mode_16_64 0
		.amdhsa_float_denorm_mode_32 3
		.amdhsa_float_denorm_mode_16_64 3
		.amdhsa_dx10_clamp 1
		.amdhsa_ieee_mode 1
		.amdhsa_fp16_overflow 0
		.amdhsa_workgroup_processor_mode 1
		.amdhsa_memory_ordered 1
		.amdhsa_forward_progress 0
		.amdhsa_shared_vgpr_count 0
		.amdhsa_exception_fp_ieee_invalid_op 0
		.amdhsa_exception_fp_denorm_src 0
		.amdhsa_exception_fp_ieee_div_zero 0
		.amdhsa_exception_fp_ieee_overflow 0
		.amdhsa_exception_fp_ieee_underflow 0
		.amdhsa_exception_fp_ieee_inexact 0
		.amdhsa_exception_int_div_zero 0
	.end_amdhsa_kernel
	.section	.text._Z6kernelI27subtract_right_partial_tileLj256ELj32ELb0EJPaPiS1_jEEvDpT3_,"axG",@progbits,_Z6kernelI27subtract_right_partial_tileLj256ELj32ELb0EJPaPiS1_jEEvDpT3_,comdat
.Lfunc_end197:
	.size	_Z6kernelI27subtract_right_partial_tileLj256ELj32ELb0EJPaPiS1_jEEvDpT3_, .Lfunc_end197-_Z6kernelI27subtract_right_partial_tileLj256ELj32ELb0EJPaPiS1_jEEvDpT3_
                                        ; -- End function
	.section	.AMDGPU.csdata,"",@progbits
; Kernel info:
; codeLenInByte = 1912
; NumSgprs: 18
; NumVgprs: 94
; ScratchSize: 0
; MemoryBound: 0
; FloatMode: 240
; IeeeMode: 1
; LDSByteSize: 512 bytes/workgroup (compile time only)
; SGPRBlocks: 2
; VGPRBlocks: 11
; NumSGPRsForWavesPerEU: 18
; NumVGPRsForWavesPerEU: 94
; Occupancy: 16
; WaveLimiterHint : 1
; COMPUTE_PGM_RSRC2:SCRATCH_EN: 0
; COMPUTE_PGM_RSRC2:USER_SGPR: 15
; COMPUTE_PGM_RSRC2:TRAP_HANDLER: 0
; COMPUTE_PGM_RSRC2:TGID_X_EN: 1
; COMPUTE_PGM_RSRC2:TGID_Y_EN: 0
; COMPUTE_PGM_RSRC2:TGID_Z_EN: 0
; COMPUTE_PGM_RSRC2:TIDIG_COMP_CNT: 0
	.section	.text._Z6kernelI27subtract_right_partial_tileLj256ELj1ELb0EJPxPiS1_jEEvDpT3_,"axG",@progbits,_Z6kernelI27subtract_right_partial_tileLj256ELj1ELb0EJPxPiS1_jEEvDpT3_,comdat
	.protected	_Z6kernelI27subtract_right_partial_tileLj256ELj1ELb0EJPxPiS1_jEEvDpT3_ ; -- Begin function _Z6kernelI27subtract_right_partial_tileLj256ELj1ELb0EJPxPiS1_jEEvDpT3_
	.globl	_Z6kernelI27subtract_right_partial_tileLj256ELj1ELb0EJPxPiS1_jEEvDpT3_
	.p2align	8
	.type	_Z6kernelI27subtract_right_partial_tileLj256ELj1ELb0EJPxPiS1_jEEvDpT3_,@function
_Z6kernelI27subtract_right_partial_tileLj256ELj1ELb0EJPxPiS1_jEEvDpT3_: ; @_Z6kernelI27subtract_right_partial_tileLj256ELj1ELb0EJPxPiS1_jEEvDpT3_
; %bb.0:
	s_clause 0x1
	s_load_b128 s[8:11], s[0:1], 0x0
	s_load_b64 s[4:5], s[0:1], 0x10
	s_lshl_b32 s12, s15, 8
	s_mov_b32 s13, 0
	v_lshlrev_b32_e32 v5, 3, v0
	s_lshl_b64 s[2:3], s[12:13], 3
	s_mov_b32 s6, s15
	s_mov_b32 s7, s13
	v_add_nc_u32_e32 v6, 1, v0
	v_or_b32_e32 v7, 0x800, v5
	s_waitcnt lgkmcnt(0)
	s_add_u32 s8, s8, s2
	s_addc_u32 s9, s9, s3
	global_load_b64 v[1:2], v5, s[8:9]
	s_load_b32 s8, s[0:1], 0x18
	s_lshl_b64 s[0:1], s[6:7], 2
	s_delay_alu instid0(SALU_CYCLE_1)
	s_add_u32 s0, s10, s0
	s_addc_u32 s1, s11, s1
	s_load_b32 s0, s[0:1], 0x0
	s_waitcnt lgkmcnt(0)
	v_cvt_f32_u32_e32 v3, s8
	s_sub_i32 s7, 0, s8
	s_delay_alu instid0(VALU_DEP_1) | instskip(SKIP_2) | instid1(VALU_DEP_1)
	v_rcp_iflag_f32_e32 v3, v3
	s_waitcnt_depctr 0xfff
	v_mul_f32_e32 v3, 0x4f7ffffe, v3
	v_cvt_u32_f32_e32 v3, v3
	s_delay_alu instid0(VALU_DEP_1) | instskip(NEXT) | instid1(VALU_DEP_1)
	v_readfirstlane_b32 s6, v3
	s_mul_i32 s7, s7, s6
	s_delay_alu instid0(SALU_CYCLE_1) | instskip(NEXT) | instid1(SALU_CYCLE_1)
	s_mul_hi_u32 s7, s6, s7
	s_add_i32 s6, s6, s7
	s_delay_alu instid0(SALU_CYCLE_1) | instskip(NEXT) | instid1(SALU_CYCLE_1)
	s_lshr_b32 s6, s6, 24
	s_mul_i32 s1, s6, s8
	s_add_i32 s7, s6, 1
	s_sub_i32 s1, 0x100, s1
	s_delay_alu instid0(SALU_CYCLE_1)
	s_sub_i32 s9, s1, s8
	s_cmp_ge_u32 s1, s8
	s_cselect_b32 s6, s7, s6
	s_cselect_b32 s1, s9, s1
	s_add_i32 s7, s6, 1
	s_cmp_ge_u32 s1, s8
	s_cselect_b32 s1, s7, s6
	s_max_u32 s6, s8, 1
	s_add_i32 s1, s1, 1
	s_set_inst_prefetch_distance 0x1
	s_branch .LBB198_2
	.p2align	6
.LBB198_1:                              ;   in Loop: Header=BB198_2 Depth=1
	s_or_b32 exec_lo, exec_lo, s7
	s_delay_alu instid0(VALU_DEP_2)
	v_add_co_u32 v1, vcc_lo, v3, v1
	s_add_i32 s0, s1, s0
	v_add_co_ci_u32_e32 v2, vcc_lo, v4, v2, vcc_lo
	s_add_i32 s6, s6, -1
	s_and_b32 s0, s0, 0xff
	s_cmp_lg_u32 s6, 0
	s_barrier
	buffer_gl0_inv
	s_cbranch_scc0 .LBB198_4
.LBB198_2:                              ; =>This Inner Loop Header: Depth=1
	s_waitcnt vmcnt(0)
	v_dual_mov_b32 v4, v2 :: v_dual_mov_b32 v3, v1
	s_mov_b32 s7, exec_lo
	ds_store_b64 v5, v[1:2] offset:2048
	s_waitcnt lgkmcnt(0)
	s_barrier
	buffer_gl0_inv
	v_cmpx_gt_u32_e64 s0, v6
	s_cbranch_execz .LBB198_1
; %bb.3:                                ;   in Loop: Header=BB198_2 Depth=1
	ds_load_b64 v[3:4], v7 offset:8
	s_waitcnt lgkmcnt(0)
	v_sub_co_u32 v3, vcc_lo, v1, v3
	v_sub_co_ci_u32_e32 v4, vcc_lo, v2, v4, vcc_lo
	s_branch .LBB198_1
.LBB198_4:
	s_set_inst_prefetch_distance 0x2
	v_lshlrev_b32_e32 v0, 3, v0
	s_add_u32 s0, s4, s2
	s_addc_u32 s1, s5, s3
	global_store_b64 v0, v[1:2], s[0:1]
	s_nop 0
	s_sendmsg sendmsg(MSG_DEALLOC_VGPRS)
	s_endpgm
	.section	.rodata,"a",@progbits
	.p2align	6, 0x0
	.amdhsa_kernel _Z6kernelI27subtract_right_partial_tileLj256ELj1ELb0EJPxPiS1_jEEvDpT3_
		.amdhsa_group_segment_fixed_size 4096
		.amdhsa_private_segment_fixed_size 0
		.amdhsa_kernarg_size 28
		.amdhsa_user_sgpr_count 15
		.amdhsa_user_sgpr_dispatch_ptr 0
		.amdhsa_user_sgpr_queue_ptr 0
		.amdhsa_user_sgpr_kernarg_segment_ptr 1
		.amdhsa_user_sgpr_dispatch_id 0
		.amdhsa_user_sgpr_private_segment_size 0
		.amdhsa_wavefront_size32 1
		.amdhsa_uses_dynamic_stack 0
		.amdhsa_enable_private_segment 0
		.amdhsa_system_sgpr_workgroup_id_x 1
		.amdhsa_system_sgpr_workgroup_id_y 0
		.amdhsa_system_sgpr_workgroup_id_z 0
		.amdhsa_system_sgpr_workgroup_info 0
		.amdhsa_system_vgpr_workitem_id 0
		.amdhsa_next_free_vgpr 8
		.amdhsa_next_free_sgpr 16
		.amdhsa_reserve_vcc 1
		.amdhsa_float_round_mode_32 0
		.amdhsa_float_round_mode_16_64 0
		.amdhsa_float_denorm_mode_32 3
		.amdhsa_float_denorm_mode_16_64 3
		.amdhsa_dx10_clamp 1
		.amdhsa_ieee_mode 1
		.amdhsa_fp16_overflow 0
		.amdhsa_workgroup_processor_mode 1
		.amdhsa_memory_ordered 1
		.amdhsa_forward_progress 0
		.amdhsa_shared_vgpr_count 0
		.amdhsa_exception_fp_ieee_invalid_op 0
		.amdhsa_exception_fp_denorm_src 0
		.amdhsa_exception_fp_ieee_div_zero 0
		.amdhsa_exception_fp_ieee_overflow 0
		.amdhsa_exception_fp_ieee_underflow 0
		.amdhsa_exception_fp_ieee_inexact 0
		.amdhsa_exception_int_div_zero 0
	.end_amdhsa_kernel
	.section	.text._Z6kernelI27subtract_right_partial_tileLj256ELj1ELb0EJPxPiS1_jEEvDpT3_,"axG",@progbits,_Z6kernelI27subtract_right_partial_tileLj256ELj1ELb0EJPxPiS1_jEEvDpT3_,comdat
.Lfunc_end198:
	.size	_Z6kernelI27subtract_right_partial_tileLj256ELj1ELb0EJPxPiS1_jEEvDpT3_, .Lfunc_end198-_Z6kernelI27subtract_right_partial_tileLj256ELj1ELb0EJPxPiS1_jEEvDpT3_
                                        ; -- End function
	.section	.AMDGPU.csdata,"",@progbits
; Kernel info:
; codeLenInByte = 412
; NumSgprs: 18
; NumVgprs: 8
; ScratchSize: 0
; MemoryBound: 0
; FloatMode: 240
; IeeeMode: 1
; LDSByteSize: 4096 bytes/workgroup (compile time only)
; SGPRBlocks: 2
; VGPRBlocks: 0
; NumSGPRsForWavesPerEU: 18
; NumVGPRsForWavesPerEU: 8
; Occupancy: 16
; WaveLimiterHint : 0
; COMPUTE_PGM_RSRC2:SCRATCH_EN: 0
; COMPUTE_PGM_RSRC2:USER_SGPR: 15
; COMPUTE_PGM_RSRC2:TRAP_HANDLER: 0
; COMPUTE_PGM_RSRC2:TGID_X_EN: 1
; COMPUTE_PGM_RSRC2:TGID_Y_EN: 0
; COMPUTE_PGM_RSRC2:TGID_Z_EN: 0
; COMPUTE_PGM_RSRC2:TIDIG_COMP_CNT: 0
	.section	.text._Z6kernelI27subtract_right_partial_tileLj256ELj3ELb0EJPxPiS1_jEEvDpT3_,"axG",@progbits,_Z6kernelI27subtract_right_partial_tileLj256ELj3ELb0EJPxPiS1_jEEvDpT3_,comdat
	.protected	_Z6kernelI27subtract_right_partial_tileLj256ELj3ELb0EJPxPiS1_jEEvDpT3_ ; -- Begin function _Z6kernelI27subtract_right_partial_tileLj256ELj3ELb0EJPxPiS1_jEEvDpT3_
	.globl	_Z6kernelI27subtract_right_partial_tileLj256ELj3ELb0EJPxPiS1_jEEvDpT3_
	.p2align	8
	.type	_Z6kernelI27subtract_right_partial_tileLj256ELj3ELb0EJPxPiS1_jEEvDpT3_,@function
_Z6kernelI27subtract_right_partial_tileLj256ELj3ELb0EJPxPiS1_jEEvDpT3_: ; @_Z6kernelI27subtract_right_partial_tileLj256ELj3ELb0EJPxPiS1_jEEvDpT3_
; %bb.0:
	s_clause 0x1
	s_load_b128 s[4:7], s[0:1], 0x0
	s_load_b64 s[8:9], s[0:1], 0x10
	s_mov_b32 s13, 0
	s_mul_i32 s12, s15, 0x300
	v_lshlrev_b32_e32 v9, 3, v0
	s_lshl_b64 s[2:3], s[12:13], 3
	s_mov_b32 s10, s15
	v_mad_u32_u24 v10, v0, 3, 1
	v_mad_u32_u24 v11, v0, 3, 2
	;; [unrolled: 1-line block ×3, first 2 shown]
	v_or_b32_e32 v13, 0x800, v9
	s_waitcnt lgkmcnt(0)
	s_add_u32 s4, s4, s2
	s_addc_u32 s5, s5, s3
	v_add_co_u32 v1, s11, s4, v9
	s_delay_alu instid0(VALU_DEP_1) | instskip(SKIP_1) | instid1(VALU_DEP_2)
	v_add_co_ci_u32_e64 v2, null, s5, 0, s11
	s_mov_b32 s11, s13
	v_add_co_u32 v5, vcc_lo, 0x1000, v1
	s_delay_alu instid0(VALU_DEP_2)
	v_add_co_ci_u32_e32 v6, vcc_lo, 0, v2, vcc_lo
	s_clause 0x2
	global_load_b64 v[1:2], v9, s[4:5]
	global_load_b64 v[3:4], v9, s[4:5] offset:2048
	global_load_b64 v[5:6], v[5:6], off
	s_load_b32 s5, s[0:1], 0x18
	s_lshl_b64 s[0:1], s[10:11], 2
	s_delay_alu instid0(SALU_CYCLE_1) | instskip(SKIP_4) | instid1(VALU_DEP_1)
	s_add_u32 s0, s6, s0
	s_addc_u32 s1, s7, s1
	s_waitcnt lgkmcnt(0)
	v_cvt_f32_u32_e32 v7, s5
	s_sub_i32 s6, 0, s5
	v_rcp_iflag_f32_e32 v7, v7
	s_waitcnt_depctr 0xfff
	v_mul_f32_e32 v7, 0x4f7ffffe, v7
	s_delay_alu instid0(VALU_DEP_1) | instskip(NEXT) | instid1(VALU_DEP_1)
	v_cvt_u32_f32_e32 v7, v7
	v_readfirstlane_b32 s4, v7
	s_delay_alu instid0(VALU_DEP_1) | instskip(NEXT) | instid1(SALU_CYCLE_1)
	s_mul_i32 s6, s6, s4
	s_mul_hi_u32 s6, s4, s6
	s_delay_alu instid0(SALU_CYCLE_1) | instskip(NEXT) | instid1(SALU_CYCLE_1)
	s_add_i32 s4, s4, s6
	s_mul_hi_u32 s6, s4, 0x300
	s_load_b32 s4, s[0:1], 0x0
	s_mul_i32 s7, s6, s5
	s_add_i32 s1, s6, 1
	s_sub_i32 s0, 0x300, s7
	s_delay_alu instid0(SALU_CYCLE_1)
	s_sub_i32 s7, s0, s5
	s_cmp_ge_u32 s0, s5
	s_cselect_b32 s1, s1, s6
	s_cselect_b32 s0, s7, s0
	s_add_i32 s6, s1, 1
	s_cmp_ge_u32 s0, s5
	s_cselect_b32 s1, s6, s1
	s_max_u32 s5, s5, 1
	s_add_i32 s1, s1, 1
	s_branch .LBB199_2
.LBB199_1:                              ;   in Loop: Header=BB199_2 Depth=1
	s_or_b32 exec_lo, exec_lo, s0
	v_cmp_gt_u32_e32 vcc_lo, s4, v10
	v_cmp_gt_u32_e64 s0, s4, v11
	s_add_i32 s4, s1, s4
	s_add_i32 s5, s5, -1
	v_dual_cndmask_b32 v14, 0, v4 :: v_dual_cndmask_b32 v15, 0, v3
	s_delay_alu instid0(VALU_DEP_2)
	v_cndmask_b32_e64 v17, 0, v5, s0
	v_cndmask_b32_e64 v16, 0, v6, s0
	s_mul_hi_u32 s0, s4, 0xaaaaaaab
	s_barrier
	v_sub_co_u32 v15, vcc_lo, v1, v15
	v_sub_co_ci_u32_e32 v14, vcc_lo, v2, v14, vcc_lo
	v_sub_co_u32 v17, vcc_lo, v3, v17
	v_sub_co_ci_u32_e32 v16, vcc_lo, v4, v16, vcc_lo
	s_delay_alu instid0(VALU_DEP_4) | instskip(NEXT) | instid1(VALU_DEP_4)
	v_add_co_u32 v1, vcc_lo, v15, v1
	v_add_co_ci_u32_e32 v2, vcc_lo, v14, v2, vcc_lo
	s_delay_alu instid0(VALU_DEP_4) | instskip(NEXT) | instid1(VALU_DEP_4)
	v_add_co_u32 v3, vcc_lo, v17, v3
	v_add_co_ci_u32_e32 v4, vcc_lo, v16, v4, vcc_lo
	s_lshr_b32 s0, s0, 9
	v_add_co_u32 v5, vcc_lo, v7, v5
	s_mulk_i32 s0, 0x300
	v_add_co_ci_u32_e32 v6, vcc_lo, v8, v6, vcc_lo
	s_sub_i32 s4, s4, s0
	s_cmp_lg_u32 s5, 0
	buffer_gl0_inv
	s_cbranch_scc0 .LBB199_4
.LBB199_2:                              ; =>This Inner Loop Header: Depth=1
	s_waitcnt vmcnt(0)
	v_dual_mov_b32 v8, v6 :: v_dual_mov_b32 v7, v5
	s_mov_b32 s0, exec_lo
	ds_store_b64 v9, v[1:2] offset:2048
	s_waitcnt lgkmcnt(0)
	s_barrier
	buffer_gl0_inv
	v_cmpx_gt_u32_e64 s4, v12
	s_cbranch_execz .LBB199_1
; %bb.3:                                ;   in Loop: Header=BB199_2 Depth=1
	ds_load_b64 v[7:8], v13 offset:8
	s_waitcnt lgkmcnt(0)
	v_sub_co_u32 v7, vcc_lo, v5, v7
	v_sub_co_ci_u32_e32 v8, vcc_lo, v6, v8, vcc_lo
	s_branch .LBB199_1
.LBB199_4:
	v_lshlrev_b32_e32 v0, 3, v0
	s_add_u32 s0, s8, s2
	s_addc_u32 s1, s9, s3
	s_delay_alu instid0(VALU_DEP_1) | instskip(NEXT) | instid1(VALU_DEP_1)
	v_add_co_u32 v7, s2, s0, v0
	v_add_co_ci_u32_e64 v8, null, s1, 0, s2
	s_delay_alu instid0(VALU_DEP_2) | instskip(NEXT) | instid1(VALU_DEP_2)
	v_add_co_u32 v7, vcc_lo, 0x1000, v7
	v_add_co_ci_u32_e32 v8, vcc_lo, 0, v8, vcc_lo
	s_clause 0x2
	global_store_b64 v0, v[1:2], s[0:1]
	global_store_b64 v0, v[3:4], s[0:1] offset:2048
	global_store_b64 v[7:8], v[5:6], off
	s_nop 0
	s_sendmsg sendmsg(MSG_DEALLOC_VGPRS)
	s_endpgm
	.section	.rodata,"a",@progbits
	.p2align	6, 0x0
	.amdhsa_kernel _Z6kernelI27subtract_right_partial_tileLj256ELj3ELb0EJPxPiS1_jEEvDpT3_
		.amdhsa_group_segment_fixed_size 4096
		.amdhsa_private_segment_fixed_size 0
		.amdhsa_kernarg_size 28
		.amdhsa_user_sgpr_count 15
		.amdhsa_user_sgpr_dispatch_ptr 0
		.amdhsa_user_sgpr_queue_ptr 0
		.amdhsa_user_sgpr_kernarg_segment_ptr 1
		.amdhsa_user_sgpr_dispatch_id 0
		.amdhsa_user_sgpr_private_segment_size 0
		.amdhsa_wavefront_size32 1
		.amdhsa_uses_dynamic_stack 0
		.amdhsa_enable_private_segment 0
		.amdhsa_system_sgpr_workgroup_id_x 1
		.amdhsa_system_sgpr_workgroup_id_y 0
		.amdhsa_system_sgpr_workgroup_id_z 0
		.amdhsa_system_sgpr_workgroup_info 0
		.amdhsa_system_vgpr_workitem_id 0
		.amdhsa_next_free_vgpr 18
		.amdhsa_next_free_sgpr 16
		.amdhsa_reserve_vcc 1
		.amdhsa_float_round_mode_32 0
		.amdhsa_float_round_mode_16_64 0
		.amdhsa_float_denorm_mode_32 3
		.amdhsa_float_denorm_mode_16_64 3
		.amdhsa_dx10_clamp 1
		.amdhsa_ieee_mode 1
		.amdhsa_fp16_overflow 0
		.amdhsa_workgroup_processor_mode 1
		.amdhsa_memory_ordered 1
		.amdhsa_forward_progress 0
		.amdhsa_shared_vgpr_count 0
		.amdhsa_exception_fp_ieee_invalid_op 0
		.amdhsa_exception_fp_denorm_src 0
		.amdhsa_exception_fp_ieee_div_zero 0
		.amdhsa_exception_fp_ieee_overflow 0
		.amdhsa_exception_fp_ieee_underflow 0
		.amdhsa_exception_fp_ieee_inexact 0
		.amdhsa_exception_int_div_zero 0
	.end_amdhsa_kernel
	.section	.text._Z6kernelI27subtract_right_partial_tileLj256ELj3ELb0EJPxPiS1_jEEvDpT3_,"axG",@progbits,_Z6kernelI27subtract_right_partial_tileLj256ELj3ELb0EJPxPiS1_jEEvDpT3_,comdat
.Lfunc_end199:
	.size	_Z6kernelI27subtract_right_partial_tileLj256ELj3ELb0EJPxPiS1_jEEvDpT3_, .Lfunc_end199-_Z6kernelI27subtract_right_partial_tileLj256ELj3ELb0EJPxPiS1_jEEvDpT3_
                                        ; -- End function
	.section	.AMDGPU.csdata,"",@progbits
; Kernel info:
; codeLenInByte = 652
; NumSgprs: 18
; NumVgprs: 18
; ScratchSize: 0
; MemoryBound: 0
; FloatMode: 240
; IeeeMode: 1
; LDSByteSize: 4096 bytes/workgroup (compile time only)
; SGPRBlocks: 2
; VGPRBlocks: 2
; NumSGPRsForWavesPerEU: 18
; NumVGPRsForWavesPerEU: 18
; Occupancy: 16
; WaveLimiterHint : 1
; COMPUTE_PGM_RSRC2:SCRATCH_EN: 0
; COMPUTE_PGM_RSRC2:USER_SGPR: 15
; COMPUTE_PGM_RSRC2:TRAP_HANDLER: 0
; COMPUTE_PGM_RSRC2:TGID_X_EN: 1
; COMPUTE_PGM_RSRC2:TGID_Y_EN: 0
; COMPUTE_PGM_RSRC2:TGID_Z_EN: 0
; COMPUTE_PGM_RSRC2:TIDIG_COMP_CNT: 0
	.section	.text._Z6kernelI27subtract_right_partial_tileLj256ELj4ELb0EJPxPiS1_jEEvDpT3_,"axG",@progbits,_Z6kernelI27subtract_right_partial_tileLj256ELj4ELb0EJPxPiS1_jEEvDpT3_,comdat
	.protected	_Z6kernelI27subtract_right_partial_tileLj256ELj4ELb0EJPxPiS1_jEEvDpT3_ ; -- Begin function _Z6kernelI27subtract_right_partial_tileLj256ELj4ELb0EJPxPiS1_jEEvDpT3_
	.globl	_Z6kernelI27subtract_right_partial_tileLj256ELj4ELb0EJPxPiS1_jEEvDpT3_
	.p2align	8
	.type	_Z6kernelI27subtract_right_partial_tileLj256ELj4ELb0EJPxPiS1_jEEvDpT3_,@function
_Z6kernelI27subtract_right_partial_tileLj256ELj4ELb0EJPxPiS1_jEEvDpT3_: ; @_Z6kernelI27subtract_right_partial_tileLj256ELj4ELb0EJPxPiS1_jEEvDpT3_
; %bb.0:
	s_clause 0x1
	s_load_b128 s[4:7], s[0:1], 0x0
	s_load_b64 s[8:9], s[0:1], 0x10
	s_mov_b32 s13, 0
	s_lshl_b32 s12, s15, 10
	v_lshlrev_b32_e32 v11, 3, v0
	s_lshl_b64 s[2:3], s[12:13], 3
	s_mov_b32 s10, s15
	s_delay_alu instid0(VALU_DEP_1) | instskip(SKIP_4) | instid1(VALU_DEP_1)
	v_or_b32_e32 v16, 0x800, v11
	s_waitcnt lgkmcnt(0)
	s_add_u32 s4, s4, s2
	s_addc_u32 s5, s5, s3
	v_add_co_u32 v1, s11, s4, v11
	v_add_co_ci_u32_e64 v2, null, s5, 0, s11
	s_mov_b32 s11, s13
	s_delay_alu instid0(VALU_DEP_2) | instskip(NEXT) | instid1(VALU_DEP_2)
	v_add_co_u32 v7, vcc_lo, 0x1000, v1
	v_add_co_ci_u32_e32 v8, vcc_lo, 0, v2, vcc_lo
	s_clause 0x3
	global_load_b64 v[1:2], v11, s[4:5]
	global_load_b64 v[3:4], v11, s[4:5] offset:2048
	global_load_b64 v[5:6], v[7:8], off
	global_load_b64 v[7:8], v[7:8], off offset:2048
	s_load_b32 s5, s[0:1], 0x18
	s_lshl_b64 s[0:1], s[10:11], 2
	s_delay_alu instid0(SALU_CYCLE_1)
	s_add_u32 s0, s6, s0
	s_addc_u32 s1, s7, s1
	s_load_b32 s1, s[0:1], 0x0
	s_waitcnt lgkmcnt(0)
	v_cvt_f32_u32_e32 v9, s5
	s_sub_i32 s6, 0, s5
	s_delay_alu instid0(VALU_DEP_1) | instskip(SKIP_2) | instid1(VALU_DEP_1)
	v_rcp_iflag_f32_e32 v9, v9
	s_waitcnt_depctr 0xfff
	v_mul_f32_e32 v9, 0x4f7ffffe, v9
	v_cvt_u32_f32_e32 v9, v9
	s_delay_alu instid0(VALU_DEP_1) | instskip(SKIP_1) | instid1(VALU_DEP_2)
	v_readfirstlane_b32 s4, v9
	v_lshlrev_b32_e32 v9, 2, v0
	s_mul_i32 s6, s6, s4
	s_delay_alu instid0(VALU_DEP_1)
	v_or_b32_e32 v12, 1, v9
	s_mul_hi_u32 s6, s4, s6
	v_or_b32_e32 v13, 2, v9
	s_add_i32 s4, s4, s6
	v_or_b32_e32 v14, 3, v9
	s_lshr_b32 s4, s4, 22
	v_add_nc_u32_e32 v15, 4, v9
	s_mul_i32 s6, s4, s5
	s_delay_alu instid0(SALU_CYCLE_1)
	s_sub_i32 s0, 0x400, s6
	s_add_i32 s6, s4, 1
	s_sub_i32 s7, s0, s5
	s_cmp_ge_u32 s0, s5
	s_cselect_b32 s4, s6, s4
	s_cselect_b32 s0, s7, s0
	s_add_i32 s6, s4, 1
	s_cmp_ge_u32 s0, s5
	s_cselect_b32 s4, s6, s4
	s_max_u32 s5, s5, 1
	s_add_i32 s4, s4, 1
	s_branch .LBB200_2
.LBB200_1:                              ;   in Loop: Header=BB200_2 Depth=1
	s_or_b32 exec_lo, exec_lo, s0
	v_cmp_gt_u32_e32 vcc_lo, s1, v12
	v_cmp_gt_u32_e64 s0, s1, v13
	s_add_i32 s5, s5, -1
	s_barrier
	v_dual_cndmask_b32 v17, 0, v4 :: v_dual_cndmask_b32 v18, 0, v3
	v_cmp_gt_u32_e32 vcc_lo, s1, v14
	v_cndmask_b32_e64 v20, 0, v5, s0
	v_cndmask_b32_e64 v19, 0, v6, s0
	buffer_gl0_inv
	v_sub_co_u32 v18, s0, v1, v18
	v_dual_cndmask_b32 v21, 0, v8 :: v_dual_cndmask_b32 v22, 0, v7
	v_sub_co_u32 v20, vcc_lo, v3, v20
	v_sub_co_ci_u32_e32 v19, vcc_lo, v4, v19, vcc_lo
	v_sub_co_ci_u32_e64 v17, s0, v2, v17, s0
	s_delay_alu instid0(VALU_DEP_4) | instskip(SKIP_2) | instid1(VALU_DEP_4)
	v_sub_co_u32 v22, vcc_lo, v5, v22
	v_sub_co_ci_u32_e32 v21, vcc_lo, v6, v21, vcc_lo
	v_add_co_u32 v1, vcc_lo, v18, v1
	v_add_co_ci_u32_e32 v2, vcc_lo, v17, v2, vcc_lo
	v_add_co_u32 v3, vcc_lo, v20, v3
	v_add_co_ci_u32_e32 v4, vcc_lo, v19, v4, vcc_lo
	;; [unrolled: 2-line block ×3, first 2 shown]
	v_add_co_u32 v7, vcc_lo, v9, v7
	s_add_i32 s0, s4, s1
	v_add_co_ci_u32_e32 v8, vcc_lo, v10, v8, vcc_lo
	s_and_b32 s1, s0, 0x3ff
	s_cmp_lg_u32 s5, 0
	s_cbranch_scc0 .LBB200_4
.LBB200_2:                              ; =>This Inner Loop Header: Depth=1
	s_waitcnt vmcnt(0)
	v_dual_mov_b32 v10, v8 :: v_dual_mov_b32 v9, v7
	s_mov_b32 s0, exec_lo
	ds_store_b64 v11, v[1:2] offset:2048
	s_waitcnt lgkmcnt(0)
	s_barrier
	buffer_gl0_inv
	v_cmpx_gt_u32_e64 s1, v15
	s_cbranch_execz .LBB200_1
; %bb.3:                                ;   in Loop: Header=BB200_2 Depth=1
	ds_load_b64 v[9:10], v16 offset:8
	s_waitcnt lgkmcnt(0)
	v_sub_co_u32 v9, vcc_lo, v7, v9
	v_sub_co_ci_u32_e32 v10, vcc_lo, v8, v10, vcc_lo
	s_branch .LBB200_1
.LBB200_4:
	v_lshlrev_b32_e32 v0, 3, v0
	s_add_u32 s0, s8, s2
	s_addc_u32 s1, s9, s3
	s_delay_alu instid0(VALU_DEP_1) | instskip(NEXT) | instid1(VALU_DEP_1)
	v_add_co_u32 v9, s2, s0, v0
	v_add_co_ci_u32_e64 v10, null, s1, 0, s2
	s_delay_alu instid0(VALU_DEP_2) | instskip(NEXT) | instid1(VALU_DEP_2)
	v_add_co_u32 v9, vcc_lo, 0x1000, v9
	v_add_co_ci_u32_e32 v10, vcc_lo, 0, v10, vcc_lo
	s_clause 0x3
	global_store_b64 v0, v[1:2], s[0:1]
	global_store_b64 v0, v[3:4], s[0:1] offset:2048
	global_store_b64 v[9:10], v[5:6], off
	global_store_b64 v[9:10], v[7:8], off offset:2048
	s_nop 0
	s_sendmsg sendmsg(MSG_DEALLOC_VGPRS)
	s_endpgm
	.section	.rodata,"a",@progbits
	.p2align	6, 0x0
	.amdhsa_kernel _Z6kernelI27subtract_right_partial_tileLj256ELj4ELb0EJPxPiS1_jEEvDpT3_
		.amdhsa_group_segment_fixed_size 4096
		.amdhsa_private_segment_fixed_size 0
		.amdhsa_kernarg_size 28
		.amdhsa_user_sgpr_count 15
		.amdhsa_user_sgpr_dispatch_ptr 0
		.amdhsa_user_sgpr_queue_ptr 0
		.amdhsa_user_sgpr_kernarg_segment_ptr 1
		.amdhsa_user_sgpr_dispatch_id 0
		.amdhsa_user_sgpr_private_segment_size 0
		.amdhsa_wavefront_size32 1
		.amdhsa_uses_dynamic_stack 0
		.amdhsa_enable_private_segment 0
		.amdhsa_system_sgpr_workgroup_id_x 1
		.amdhsa_system_sgpr_workgroup_id_y 0
		.amdhsa_system_sgpr_workgroup_id_z 0
		.amdhsa_system_sgpr_workgroup_info 0
		.amdhsa_system_vgpr_workitem_id 0
		.amdhsa_next_free_vgpr 23
		.amdhsa_next_free_sgpr 16
		.amdhsa_reserve_vcc 1
		.amdhsa_float_round_mode_32 0
		.amdhsa_float_round_mode_16_64 0
		.amdhsa_float_denorm_mode_32 3
		.amdhsa_float_denorm_mode_16_64 3
		.amdhsa_dx10_clamp 1
		.amdhsa_ieee_mode 1
		.amdhsa_fp16_overflow 0
		.amdhsa_workgroup_processor_mode 1
		.amdhsa_memory_ordered 1
		.amdhsa_forward_progress 0
		.amdhsa_shared_vgpr_count 0
		.amdhsa_exception_fp_ieee_invalid_op 0
		.amdhsa_exception_fp_denorm_src 0
		.amdhsa_exception_fp_ieee_div_zero 0
		.amdhsa_exception_fp_ieee_overflow 0
		.amdhsa_exception_fp_ieee_underflow 0
		.amdhsa_exception_fp_ieee_inexact 0
		.amdhsa_exception_int_div_zero 0
	.end_amdhsa_kernel
	.section	.text._Z6kernelI27subtract_right_partial_tileLj256ELj4ELb0EJPxPiS1_jEEvDpT3_,"axG",@progbits,_Z6kernelI27subtract_right_partial_tileLj256ELj4ELb0EJPxPiS1_jEEvDpT3_,comdat
.Lfunc_end200:
	.size	_Z6kernelI27subtract_right_partial_tileLj256ELj4ELb0EJPxPiS1_jEEvDpT3_, .Lfunc_end200-_Z6kernelI27subtract_right_partial_tileLj256ELj4ELb0EJPxPiS1_jEEvDpT3_
                                        ; -- End function
	.section	.AMDGPU.csdata,"",@progbits
; Kernel info:
; codeLenInByte = 676
; NumSgprs: 18
; NumVgprs: 23
; ScratchSize: 0
; MemoryBound: 0
; FloatMode: 240
; IeeeMode: 1
; LDSByteSize: 4096 bytes/workgroup (compile time only)
; SGPRBlocks: 2
; VGPRBlocks: 2
; NumSGPRsForWavesPerEU: 18
; NumVGPRsForWavesPerEU: 23
; Occupancy: 16
; WaveLimiterHint : 1
; COMPUTE_PGM_RSRC2:SCRATCH_EN: 0
; COMPUTE_PGM_RSRC2:USER_SGPR: 15
; COMPUTE_PGM_RSRC2:TRAP_HANDLER: 0
; COMPUTE_PGM_RSRC2:TGID_X_EN: 1
; COMPUTE_PGM_RSRC2:TGID_Y_EN: 0
; COMPUTE_PGM_RSRC2:TGID_Z_EN: 0
; COMPUTE_PGM_RSRC2:TIDIG_COMP_CNT: 0
	.section	.text._Z6kernelI27subtract_right_partial_tileLj256ELj8ELb0EJPxPiS1_jEEvDpT3_,"axG",@progbits,_Z6kernelI27subtract_right_partial_tileLj256ELj8ELb0EJPxPiS1_jEEvDpT3_,comdat
	.protected	_Z6kernelI27subtract_right_partial_tileLj256ELj8ELb0EJPxPiS1_jEEvDpT3_ ; -- Begin function _Z6kernelI27subtract_right_partial_tileLj256ELj8ELb0EJPxPiS1_jEEvDpT3_
	.globl	_Z6kernelI27subtract_right_partial_tileLj256ELj8ELb0EJPxPiS1_jEEvDpT3_
	.p2align	8
	.type	_Z6kernelI27subtract_right_partial_tileLj256ELj8ELb0EJPxPiS1_jEEvDpT3_,@function
_Z6kernelI27subtract_right_partial_tileLj256ELj8ELb0EJPxPiS1_jEEvDpT3_: ; @_Z6kernelI27subtract_right_partial_tileLj256ELj8ELb0EJPxPiS1_jEEvDpT3_
; %bb.0:
	s_clause 0x1
	s_load_b128 s[4:7], s[0:1], 0x0
	s_load_b64 s[8:9], s[0:1], 0x10
	s_mov_b32 s13, 0
	s_lshl_b32 s12, s15, 11
	v_lshlrev_b32_e32 v19, 3, v0
	s_lshl_b64 s[2:3], s[12:13], 3
	s_load_b32 s12, s[0:1], 0x18
	s_mov_b32 s10, s15
	s_delay_alu instid0(VALU_DEP_1)
	v_or_b32_e32 v20, 1, v19
	v_or_b32_e32 v21, 2, v19
	;; [unrolled: 1-line block ×7, first 2 shown]
	v_add_nc_u32_e32 v27, 8, v19
	v_or_b32_e32 v28, 0x800, v19
	s_waitcnt lgkmcnt(0)
	s_add_u32 s4, s4, s2
	s_addc_u32 s5, s5, s3
	v_add_co_u32 v5, s11, s4, v19
	s_delay_alu instid0(VALU_DEP_1)
	v_add_co_ci_u32_e64 v6, null, s5, 0, s11
	s_clause 0x1
	global_load_b64 v[3:4], v19, s[4:5]
	global_load_b64 v[1:2], v19, s[4:5] offset:2048
	v_add_co_u32 v7, vcc_lo, 0x1000, v5
	v_add_co_ci_u32_e32 v8, vcc_lo, 0, v6, vcc_lo
	v_add_co_u32 v9, vcc_lo, v5, 0x2000
	v_add_co_ci_u32_e32 v10, vcc_lo, 0, v6, vcc_lo
	v_add_co_u32 v11, vcc_lo, 0x2000, v5
	v_add_co_ci_u32_e32 v12, vcc_lo, 0, v6, vcc_lo
	v_add_co_u32 v17, vcc_lo, 0x3000, v5
	v_add_co_ci_u32_e32 v18, vcc_lo, 0, v6, vcc_lo
	s_clause 0x5
	global_load_b64 v[5:6], v[9:10], off offset:-4096
	global_load_b64 v[15:16], v[9:10], off
	global_load_b64 v[13:14], v[7:8], off offset:2048
	global_load_b64 v[11:12], v[11:12], off offset:2048
	global_load_b64 v[9:10], v[17:18], off
	global_load_b64 v[7:8], v[17:18], off offset:2048
	v_cvt_f32_u32_e32 v17, s12
	s_mov_b32 s11, s13
	s_delay_alu instid0(SALU_CYCLE_1) | instskip(NEXT) | instid1(VALU_DEP_1)
	s_lshl_b64 s[0:1], s[10:11], 2
	v_rcp_iflag_f32_e32 v17, v17
	s_add_u32 s0, s6, s0
	s_addc_u32 s1, s7, s1
	s_sub_i32 s5, 0, s12
	s_waitcnt_depctr 0xfff
	v_mul_f32_e32 v17, 0x4f7ffffe, v17
	s_delay_alu instid0(VALU_DEP_1) | instskip(NEXT) | instid1(VALU_DEP_1)
	v_cvt_u32_f32_e32 v17, v17
	v_readfirstlane_b32 s4, v17
	s_delay_alu instid0(VALU_DEP_1) | instskip(NEXT) | instid1(SALU_CYCLE_1)
	s_mul_i32 s5, s5, s4
	s_mul_hi_u32 s5, s4, s5
	s_delay_alu instid0(SALU_CYCLE_1) | instskip(NEXT) | instid1(SALU_CYCLE_1)
	s_add_i32 s4, s4, s5
	s_lshr_b32 s5, s4, 21
	s_delay_alu instid0(SALU_CYCLE_1)
	s_mul_i32 s4, s5, s12
	s_add_i32 s7, s5, 1
	s_sub_i32 s6, 0x800, s4
	s_load_b32 s4, s[0:1], 0x0
	s_sub_i32 s10, s6, s12
	s_cmp_ge_u32 s6, s12
	s_cselect_b32 s0, s7, s5
	s_cselect_b32 s1, s10, s6
	s_add_i32 s5, s0, 1
	s_cmp_ge_u32 s1, s12
	s_cselect_b32 s5, s5, s0
	s_max_u32 s6, s12, 1
	s_add_i32 s5, s5, 1
	s_branch .LBB201_2
.LBB201_1:                              ;   in Loop: Header=BB201_2 Depth=1
	s_or_b32 exec_lo, exec_lo, s0
	v_cmp_gt_u32_e32 vcc_lo, s4, v20
	v_cmp_gt_u32_e64 s0, s4, v21
	s_add_i32 s6, s6, -1
	s_barrier
	v_dual_cndmask_b32 v29, 0, v2 :: v_dual_cndmask_b32 v30, 0, v1
	v_cmp_gt_u32_e32 vcc_lo, s4, v22
	v_cndmask_b32_e64 v32, 0, v5, s0
	v_cndmask_b32_e64 v31, 0, v6, s0
	buffer_gl0_inv
	v_sub_co_u32 v30, s0, v3, v30
	v_dual_cndmask_b32 v33, 0, v14 :: v_dual_cndmask_b32 v34, 0, v13
	v_cmp_gt_u32_e32 vcc_lo, s4, v23
	v_sub_co_ci_u32_e64 v29, s0, v4, v29, s0
	v_sub_co_u32 v32, s0, v1, v32
	v_dual_cndmask_b32 v35, 0, v16 :: v_dual_cndmask_b32 v36, 0, v15
	v_sub_co_u32 v34, vcc_lo, v5, v34
	v_sub_co_ci_u32_e32 v33, vcc_lo, v6, v33, vcc_lo
	v_cmp_gt_u32_e32 vcc_lo, s4, v24
	v_sub_co_ci_u32_e64 v31, s0, v2, v31, s0
	v_cmp_gt_u32_e64 s0, s4, v25
	v_sub_co_u32 v36, s1, v13, v36
	v_dual_cndmask_b32 v37, 0, v12 :: v_dual_cndmask_b32 v38, 0, v11
	v_cmp_gt_u32_e32 vcc_lo, s4, v26
	s_delay_alu instid0(VALU_DEP_4) | instskip(SKIP_3) | instid1(VALU_DEP_4)
	v_cndmask_b32_e64 v40, 0, v9, s0
	v_cndmask_b32_e64 v39, 0, v10, s0
	v_sub_co_ci_u32_e64 v35, s1, v14, v35, s1
	v_dual_cndmask_b32 v41, 0, v8 :: v_dual_cndmask_b32 v42, 0, v7
	v_sub_co_u32 v40, vcc_lo, v11, v40
	s_delay_alu instid0(VALU_DEP_4) | instskip(NEXT) | instid1(VALU_DEP_3)
	v_sub_co_ci_u32_e32 v39, vcc_lo, v12, v39, vcc_lo
	v_sub_co_u32 v42, vcc_lo, v9, v42
	s_delay_alu instid0(VALU_DEP_4)
	v_sub_co_ci_u32_e32 v41, vcc_lo, v10, v41, vcc_lo
	v_add_co_u32 v3, vcc_lo, v30, v3
	v_add_co_ci_u32_e32 v4, vcc_lo, v29, v4, vcc_lo
	v_add_co_u32 v1, vcc_lo, v32, v1
	v_add_co_ci_u32_e32 v2, vcc_lo, v31, v2, vcc_lo
	v_add_co_u32 v5, vcc_lo, v34, v5
	v_sub_co_u32 v38, s0, v15, v38
	v_add_co_ci_u32_e32 v6, vcc_lo, v33, v6, vcc_lo
	v_sub_co_ci_u32_e64 v37, s0, v16, v37, s0
	v_add_co_u32 v13, vcc_lo, v36, v13
	v_add_co_ci_u32_e32 v14, vcc_lo, v35, v14, vcc_lo
	v_add_co_u32 v15, vcc_lo, v38, v15
	s_delay_alu instid0(VALU_DEP_4)
	v_add_co_ci_u32_e32 v16, vcc_lo, v37, v16, vcc_lo
	v_add_co_u32 v11, vcc_lo, v40, v11
	v_add_co_ci_u32_e32 v12, vcc_lo, v39, v12, vcc_lo
	v_add_co_u32 v9, vcc_lo, v42, v9
	;; [unrolled: 2-line block ×3, first 2 shown]
	s_add_i32 s0, s5, s4
	v_add_co_ci_u32_e32 v8, vcc_lo, v18, v8, vcc_lo
	s_and_b32 s4, s0, 0x7ff
	s_cmp_lg_u32 s6, 0
	s_cbranch_scc0 .LBB201_4
.LBB201_2:                              ; =>This Inner Loop Header: Depth=1
	s_waitcnt vmcnt(0)
	v_dual_mov_b32 v18, v8 :: v_dual_mov_b32 v17, v7
	s_mov_b32 s0, exec_lo
	ds_store_b64 v19, v[3:4] offset:2048
	s_waitcnt lgkmcnt(0)
	s_barrier
	buffer_gl0_inv
	v_cmpx_gt_u32_e64 s4, v27
	s_cbranch_execz .LBB201_1
; %bb.3:                                ;   in Loop: Header=BB201_2 Depth=1
	ds_load_b64 v[17:18], v28 offset:8
	s_waitcnt lgkmcnt(0)
	v_sub_co_u32 v17, vcc_lo, v7, v17
	v_sub_co_ci_u32_e32 v18, vcc_lo, v8, v18, vcc_lo
	s_branch .LBB201_1
.LBB201_4:
	v_lshlrev_b32_e32 v0, 3, v0
	s_add_u32 s0, s8, s2
	s_addc_u32 s1, s9, s3
	s_delay_alu instid0(VALU_DEP_1) | instskip(NEXT) | instid1(VALU_DEP_1)
	v_add_co_u32 v23, s2, s0, v0
	v_add_co_ci_u32_e64 v24, null, s1, 0, s2
	s_delay_alu instid0(VALU_DEP_2) | instskip(NEXT) | instid1(VALU_DEP_2)
	v_add_co_u32 v17, vcc_lo, 0x1000, v23
	v_add_co_ci_u32_e32 v18, vcc_lo, 0, v24, vcc_lo
	v_add_co_u32 v19, vcc_lo, v23, 0x2000
	v_add_co_ci_u32_e32 v20, vcc_lo, 0, v24, vcc_lo
	;; [unrolled: 2-line block ×3, first 2 shown]
	global_store_b64 v[19:20], v[15:16], off
	v_add_co_u32 v15, vcc_lo, 0x3000, v23
	v_add_co_ci_u32_e32 v16, vcc_lo, 0, v24, vcc_lo
	s_clause 0x6
	global_store_b64 v0, v[3:4], s[0:1]
	global_store_b64 v0, v[1:2], s[0:1] offset:2048
	global_store_b64 v[17:18], v[13:14], off offset:2048
	global_store_b64 v[21:22], v[11:12], off offset:2048
	global_store_b64 v[15:16], v[9:10], off
	global_store_b64 v[19:20], v[5:6], off offset:-4096
	global_store_b64 v[15:16], v[7:8], off offset:2048
	s_nop 0
	s_sendmsg sendmsg(MSG_DEALLOC_VGPRS)
	s_endpgm
	.section	.rodata,"a",@progbits
	.p2align	6, 0x0
	.amdhsa_kernel _Z6kernelI27subtract_right_partial_tileLj256ELj8ELb0EJPxPiS1_jEEvDpT3_
		.amdhsa_group_segment_fixed_size 4096
		.amdhsa_private_segment_fixed_size 0
		.amdhsa_kernarg_size 28
		.amdhsa_user_sgpr_count 15
		.amdhsa_user_sgpr_dispatch_ptr 0
		.amdhsa_user_sgpr_queue_ptr 0
		.amdhsa_user_sgpr_kernarg_segment_ptr 1
		.amdhsa_user_sgpr_dispatch_id 0
		.amdhsa_user_sgpr_private_segment_size 0
		.amdhsa_wavefront_size32 1
		.amdhsa_uses_dynamic_stack 0
		.amdhsa_enable_private_segment 0
		.amdhsa_system_sgpr_workgroup_id_x 1
		.amdhsa_system_sgpr_workgroup_id_y 0
		.amdhsa_system_sgpr_workgroup_id_z 0
		.amdhsa_system_sgpr_workgroup_info 0
		.amdhsa_system_vgpr_workitem_id 0
		.amdhsa_next_free_vgpr 43
		.amdhsa_next_free_sgpr 16
		.amdhsa_reserve_vcc 1
		.amdhsa_float_round_mode_32 0
		.amdhsa_float_round_mode_16_64 0
		.amdhsa_float_denorm_mode_32 3
		.amdhsa_float_denorm_mode_16_64 3
		.amdhsa_dx10_clamp 1
		.amdhsa_ieee_mode 1
		.amdhsa_fp16_overflow 0
		.amdhsa_workgroup_processor_mode 1
		.amdhsa_memory_ordered 1
		.amdhsa_forward_progress 0
		.amdhsa_shared_vgpr_count 0
		.amdhsa_exception_fp_ieee_invalid_op 0
		.amdhsa_exception_fp_denorm_src 0
		.amdhsa_exception_fp_ieee_div_zero 0
		.amdhsa_exception_fp_ieee_overflow 0
		.amdhsa_exception_fp_ieee_underflow 0
		.amdhsa_exception_fp_ieee_inexact 0
		.amdhsa_exception_int_div_zero 0
	.end_amdhsa_kernel
	.section	.text._Z6kernelI27subtract_right_partial_tileLj256ELj8ELb0EJPxPiS1_jEEvDpT3_,"axG",@progbits,_Z6kernelI27subtract_right_partial_tileLj256ELj8ELb0EJPxPiS1_jEEvDpT3_,comdat
.Lfunc_end201:
	.size	_Z6kernelI27subtract_right_partial_tileLj256ELj8ELb0EJPxPiS1_jEEvDpT3_, .Lfunc_end201-_Z6kernelI27subtract_right_partial_tileLj256ELj8ELb0EJPxPiS1_jEEvDpT3_
                                        ; -- End function
	.section	.AMDGPU.csdata,"",@progbits
; Kernel info:
; codeLenInByte = 1028
; NumSgprs: 18
; NumVgprs: 43
; ScratchSize: 0
; MemoryBound: 0
; FloatMode: 240
; IeeeMode: 1
; LDSByteSize: 4096 bytes/workgroup (compile time only)
; SGPRBlocks: 2
; VGPRBlocks: 5
; NumSGPRsForWavesPerEU: 18
; NumVGPRsForWavesPerEU: 43
; Occupancy: 16
; WaveLimiterHint : 1
; COMPUTE_PGM_RSRC2:SCRATCH_EN: 0
; COMPUTE_PGM_RSRC2:USER_SGPR: 15
; COMPUTE_PGM_RSRC2:TRAP_HANDLER: 0
; COMPUTE_PGM_RSRC2:TGID_X_EN: 1
; COMPUTE_PGM_RSRC2:TGID_Y_EN: 0
; COMPUTE_PGM_RSRC2:TGID_Z_EN: 0
; COMPUTE_PGM_RSRC2:TIDIG_COMP_CNT: 0
	.section	.text._Z6kernelI27subtract_right_partial_tileLj256ELj16ELb0EJPxPiS1_jEEvDpT3_,"axG",@progbits,_Z6kernelI27subtract_right_partial_tileLj256ELj16ELb0EJPxPiS1_jEEvDpT3_,comdat
	.protected	_Z6kernelI27subtract_right_partial_tileLj256ELj16ELb0EJPxPiS1_jEEvDpT3_ ; -- Begin function _Z6kernelI27subtract_right_partial_tileLj256ELj16ELb0EJPxPiS1_jEEvDpT3_
	.globl	_Z6kernelI27subtract_right_partial_tileLj256ELj16ELb0EJPxPiS1_jEEvDpT3_
	.p2align	8
	.type	_Z6kernelI27subtract_right_partial_tileLj256ELj16ELb0EJPxPiS1_jEEvDpT3_,@function
_Z6kernelI27subtract_right_partial_tileLj256ELj16ELb0EJPxPiS1_jEEvDpT3_: ; @_Z6kernelI27subtract_right_partial_tileLj256ELj16ELb0EJPxPiS1_jEEvDpT3_
; %bb.0:
	s_clause 0x1
	s_load_b128 s[4:7], s[0:1], 0x0
	s_load_b64 s[8:9], s[0:1], 0x10
	s_mov_b32 s13, 0
	s_lshl_b32 s12, s15, 12
	v_lshlrev_b32_e32 v35, 3, v0
	s_lshl_b64 s[2:3], s[12:13], 3
	s_load_b32 s12, s[0:1], 0x18
	s_mov_b32 s10, s15
	s_delay_alu instid0(VALU_DEP_1) | instskip(SKIP_4) | instid1(VALU_DEP_1)
	v_or_b32_e32 v52, 0x800, v35
	s_waitcnt lgkmcnt(0)
	s_add_u32 s4, s4, s2
	s_addc_u32 s5, s5, s3
	v_add_co_u32 v21, s11, s4, v35
	v_add_co_ci_u32_e64 v22, null, s5, 0, s11
	s_clause 0x1
	global_load_b64 v[11:12], v35, s[4:5]
	global_load_b64 v[9:10], v35, s[4:5] offset:2048
	v_add_co_u32 v3, vcc_lo, 0x1000, v21
	v_add_co_ci_u32_e32 v4, vcc_lo, 0, v22, vcc_lo
	v_add_co_u32 v5, vcc_lo, v21, 0x2000
	v_add_co_ci_u32_e32 v6, vcc_lo, 0, v22, vcc_lo
	;; [unrolled: 2-line block ×6, first 2 shown]
	s_clause 0x7
	global_load_b64 v[1:2], v[5:6], off offset:-4096
	global_load_b64 v[27:28], v[5:6], off
	global_load_b64 v[7:8], v[13:14], off offset:-4096
	global_load_b64 v[13:14], v[13:14], off
	global_load_b64 v[31:32], v[3:4], off offset:2048
	global_load_b64 v[29:30], v[15:16], off offset:2048
	;; [unrolled: 1-line block ×4, first 2 shown]
	v_add_co_u32 v15, vcc_lo, 0x5000, v21
	v_add_co_ci_u32_e32 v16, vcc_lo, 0, v22, vcc_lo
	v_add_co_u32 v17, vcc_lo, v21, 0x6000
	v_add_co_ci_u32_e32 v18, vcc_lo, 0, v22, vcc_lo
	;; [unrolled: 2-line block ×4, first 2 shown]
	s_clause 0x5
	global_load_b64 v[25:26], v[17:18], off offset:-4096
	global_load_b64 v[23:24], v[17:18], off
	global_load_b64 v[21:22], v[15:16], off offset:2048
	global_load_b64 v[19:20], v[19:20], off offset:2048
	global_load_b64 v[17:18], v[33:34], off
	global_load_b64 v[15:16], v[33:34], off offset:2048
	v_cvt_f32_u32_e32 v33, s12
	s_mov_b32 s11, s13
	s_delay_alu instid0(SALU_CYCLE_1) | instskip(NEXT) | instid1(VALU_DEP_1)
	s_lshl_b64 s[0:1], s[10:11], 2
	v_rcp_iflag_f32_e32 v33, v33
	s_add_u32 s0, s6, s0
	s_addc_u32 s1, s7, s1
	s_sub_i32 s5, 0, s12
	s_waitcnt_depctr 0xfff
	v_mul_f32_e32 v33, 0x4f7ffffe, v33
	s_delay_alu instid0(VALU_DEP_1) | instskip(NEXT) | instid1(VALU_DEP_1)
	v_cvt_u32_f32_e32 v33, v33
	v_readfirstlane_b32 s4, v33
	v_lshlrev_b32_e32 v33, 4, v0
	s_delay_alu instid0(VALU_DEP_2) | instskip(NEXT) | instid1(VALU_DEP_1)
	s_mul_i32 s5, s5, s4
	v_or_b32_e32 v36, 1, v33
	s_mul_hi_u32 s5, s4, s5
	v_or_b32_e32 v37, 2, v33
	s_add_i32 s4, s4, s5
	v_or_b32_e32 v38, 3, v33
	s_lshr_b32 s4, s4, 20
	v_or_b32_e32 v39, 4, v33
	s_mul_i32 s5, s4, s12
	s_add_i32 s6, s4, 1
	s_sub_i32 s5, 0x1000, s5
	v_or_b32_e32 v40, 5, v33
	s_sub_i32 s7, s5, s12
	s_cmp_ge_u32 s5, s12
	v_or_b32_e32 v41, 6, v33
	s_cselect_b32 s6, s6, s4
	s_cselect_b32 s4, s7, s5
	s_add_i32 s5, s6, 1
	s_cmp_ge_u32 s4, s12
	s_load_b32 s4, s[0:1], 0x0
	v_or_b32_e32 v42, 7, v33
	v_or_b32_e32 v43, 8, v33
	v_or_b32_e32 v44, 9, v33
	v_or_b32_e32 v45, 10, v33
	v_or_b32_e32 v46, 11, v33
	v_or_b32_e32 v47, 12, v33
	v_or_b32_e32 v48, 13, v33
	v_or_b32_e32 v49, 14, v33
	v_or_b32_e32 v50, 15, v33
	v_add_nc_u32_e32 v51, 16, v33
	s_cselect_b32 s5, s5, s6
	s_max_u32 s6, s12, 1
	s_add_i32 s5, s5, 1
	s_branch .LBB202_2
.LBB202_1:                              ;   in Loop: Header=BB202_2 Depth=1
	s_or_b32 exec_lo, exec_lo, s0
	v_cmp_gt_u32_e32 vcc_lo, s4, v36
	v_cmp_gt_u32_e64 s0, s4, v37
	s_add_i32 s6, s6, -1
	s_barrier
	v_dual_cndmask_b32 v53, 0, v10 :: v_dual_cndmask_b32 v54, 0, v9
	v_cmp_gt_u32_e32 vcc_lo, s4, v38
	v_cndmask_b32_e64 v56, 0, v1, s0
	v_cndmask_b32_e64 v55, 0, v2, s0
	buffer_gl0_inv
	v_sub_co_u32 v54, s0, v11, v54
	v_dual_cndmask_b32 v57, 0, v32 :: v_dual_cndmask_b32 v58, 0, v31
	v_sub_co_u32 v56, vcc_lo, v9, v56
	v_sub_co_ci_u32_e64 v53, s0, v12, v53, s0
	v_sub_co_ci_u32_e32 v55, vcc_lo, v10, v55, vcc_lo
	v_cmp_gt_u32_e32 vcc_lo, s4, v39
	v_cmp_gt_u32_e64 s0, s4, v40
	v_sub_co_u32 v58, s1, v1, v58
	s_delay_alu instid0(VALU_DEP_1) | instskip(SKIP_1) | instid1(VALU_DEP_4)
	v_sub_co_ci_u32_e64 v57, s1, v2, v57, s1
	v_dual_cndmask_b32 v59, 0, v28 :: v_dual_cndmask_b32 v60, 0, v27
	v_cndmask_b32_e64 v62, 0, v29, s0
	v_cmp_gt_u32_e32 vcc_lo, s4, v41
	v_cndmask_b32_e64 v61, 0, v30, s0
	s_delay_alu instid0(VALU_DEP_4)
	v_sub_co_u32 v60, s0, v31, v60
	v_dual_cndmask_b32 v63, 0, v8 :: v_dual_cndmask_b32 v64, 0, v7
	v_sub_co_u32 v62, vcc_lo, v27, v62
	v_sub_co_ci_u32_e64 v59, s0, v32, v59, s0
	v_sub_co_ci_u32_e32 v61, vcc_lo, v28, v61, vcc_lo
	v_cmp_gt_u32_e32 vcc_lo, s4, v42
	v_cmp_gt_u32_e64 s0, s4, v43
	v_sub_co_u32 v64, s1, v29, v64
	s_delay_alu instid0(VALU_DEP_1) | instskip(SKIP_1) | instid1(VALU_DEP_4)
	v_sub_co_ci_u32_e64 v63, s1, v30, v63, s1
	v_dual_cndmask_b32 v65, 0, v6 :: v_dual_cndmask_b32 v66, 0, v5
	v_cndmask_b32_e64 v68, 0, v13, s0
	v_cmp_gt_u32_e32 vcc_lo, s4, v44
	v_cndmask_b32_e64 v67, 0, v14, s0
	s_delay_alu instid0(VALU_DEP_4)
	v_sub_co_u32 v66, s0, v7, v66
	v_dual_cndmask_b32 v69, 0, v4 :: v_dual_cndmask_b32 v70, 0, v3
	v_sub_co_u32 v68, vcc_lo, v5, v68
	v_sub_co_ci_u32_e64 v65, s0, v8, v65, s0
	v_sub_co_ci_u32_e32 v67, vcc_lo, v6, v67, vcc_lo
	v_cmp_gt_u32_e32 vcc_lo, s4, v45
	v_cmp_gt_u32_e64 s0, s4, v46
	v_sub_co_u32 v70, s1, v13, v70
	s_delay_alu instid0(VALU_DEP_1) | instskip(SKIP_1) | instid1(VALU_DEP_4)
	v_sub_co_ci_u32_e64 v69, s1, v14, v69, s1
	v_dual_cndmask_b32 v71, 0, v26 :: v_dual_cndmask_b32 v72, 0, v25
	v_cndmask_b32_e64 v74, 0, v21, s0
	v_cmp_gt_u32_e32 vcc_lo, s4, v47
	v_cndmask_b32_e64 v73, 0, v22, s0
	s_delay_alu instid0(VALU_DEP_4) | instskip(SKIP_2) | instid1(VALU_DEP_4)
	v_sub_co_u32 v72, s0, v3, v72
	v_dual_cndmask_b32 v75, 0, v24 :: v_dual_cndmask_b32 v76, 0, v23
	v_sub_co_u32 v74, vcc_lo, v25, v74
	v_sub_co_ci_u32_e32 v73, vcc_lo, v26, v73, vcc_lo
	v_cmp_gt_u32_e32 vcc_lo, s4, v48
	v_sub_co_ci_u32_e64 v71, s0, v4, v71, s0
	v_cmp_gt_u32_e64 s0, s4, v49
	v_sub_co_u32 v76, s1, v21, v76
	v_dual_cndmask_b32 v77, 0, v20 :: v_dual_cndmask_b32 v78, 0, v19
	v_cmp_gt_u32_e32 vcc_lo, s4, v50
	s_delay_alu instid0(VALU_DEP_4) | instskip(SKIP_3) | instid1(VALU_DEP_4)
	v_cndmask_b32_e64 v80, 0, v17, s0
	v_cndmask_b32_e64 v79, 0, v18, s0
	v_sub_co_ci_u32_e64 v75, s1, v22, v75, s1
	v_dual_cndmask_b32 v81, 0, v16 :: v_dual_cndmask_b32 v82, 0, v15
	v_sub_co_u32 v80, vcc_lo, v19, v80
	s_delay_alu instid0(VALU_DEP_4) | instskip(NEXT) | instid1(VALU_DEP_3)
	v_sub_co_ci_u32_e32 v79, vcc_lo, v20, v79, vcc_lo
	v_sub_co_u32 v82, vcc_lo, v17, v82
	s_delay_alu instid0(VALU_DEP_4)
	v_sub_co_ci_u32_e32 v81, vcc_lo, v18, v81, vcc_lo
	v_add_co_u32 v11, vcc_lo, v54, v11
	v_add_co_ci_u32_e32 v12, vcc_lo, v53, v12, vcc_lo
	v_add_co_u32 v9, vcc_lo, v56, v9
	v_add_co_ci_u32_e32 v10, vcc_lo, v55, v10, vcc_lo
	v_add_co_u32 v1, vcc_lo, v58, v1
	v_add_co_ci_u32_e32 v2, vcc_lo, v57, v2, vcc_lo
	v_add_co_u32 v31, vcc_lo, v60, v31
	v_add_co_ci_u32_e32 v32, vcc_lo, v59, v32, vcc_lo
	v_add_co_u32 v27, vcc_lo, v62, v27
	v_add_co_ci_u32_e32 v28, vcc_lo, v61, v28, vcc_lo
	v_add_co_u32 v29, vcc_lo, v64, v29
	v_add_co_ci_u32_e32 v30, vcc_lo, v63, v30, vcc_lo
	v_add_co_u32 v7, vcc_lo, v66, v7
	v_add_co_ci_u32_e32 v8, vcc_lo, v65, v8, vcc_lo
	v_add_co_u32 v5, vcc_lo, v68, v5
	v_add_co_ci_u32_e32 v6, vcc_lo, v67, v6, vcc_lo
	v_add_co_u32 v13, vcc_lo, v70, v13
	v_add_co_ci_u32_e32 v14, vcc_lo, v69, v14, vcc_lo
	v_add_co_u32 v3, vcc_lo, v72, v3
	v_add_co_ci_u32_e32 v4, vcc_lo, v71, v4, vcc_lo
	v_add_co_u32 v25, vcc_lo, v74, v25
	v_sub_co_u32 v78, s0, v23, v78
	v_add_co_ci_u32_e32 v26, vcc_lo, v73, v26, vcc_lo
	v_sub_co_ci_u32_e64 v77, s0, v24, v77, s0
	v_add_co_u32 v21, vcc_lo, v76, v21
	v_add_co_ci_u32_e32 v22, vcc_lo, v75, v22, vcc_lo
	v_add_co_u32 v23, vcc_lo, v78, v23
	s_delay_alu instid0(VALU_DEP_4)
	v_add_co_ci_u32_e32 v24, vcc_lo, v77, v24, vcc_lo
	v_add_co_u32 v19, vcc_lo, v80, v19
	v_add_co_ci_u32_e32 v20, vcc_lo, v79, v20, vcc_lo
	v_add_co_u32 v17, vcc_lo, v82, v17
	;; [unrolled: 2-line block ×3, first 2 shown]
	s_add_i32 s0, s5, s4
	v_add_co_ci_u32_e32 v16, vcc_lo, v34, v16, vcc_lo
	s_and_b32 s4, s0, 0xfff
	s_cmp_lg_u32 s6, 0
	s_cbranch_scc0 .LBB202_4
.LBB202_2:                              ; =>This Inner Loop Header: Depth=1
	s_waitcnt vmcnt(0)
	v_dual_mov_b32 v34, v16 :: v_dual_mov_b32 v33, v15
	s_mov_b32 s0, exec_lo
	ds_store_b64 v35, v[11:12] offset:2048
	s_waitcnt lgkmcnt(0)
	s_barrier
	buffer_gl0_inv
	v_cmpx_gt_u32_e64 s4, v51
	s_cbranch_execz .LBB202_1
; %bb.3:                                ;   in Loop: Header=BB202_2 Depth=1
	ds_load_b64 v[33:34], v52 offset:8
	s_waitcnt lgkmcnt(0)
	v_sub_co_u32 v33, vcc_lo, v15, v33
	v_sub_co_ci_u32_e32 v34, vcc_lo, v16, v34, vcc_lo
	s_branch .LBB202_1
.LBB202_4:
	v_lshlrev_b32_e32 v0, 3, v0
	s_add_u32 s0, s8, s2
	s_addc_u32 s1, s9, s3
	s_delay_alu instid0(VALU_DEP_1) | instskip(NEXT) | instid1(VALU_DEP_1)
	v_add_co_u32 v39, s2, s0, v0
	v_add_co_ci_u32_e64 v40, null, s1, 0, s2
	s_delay_alu instid0(VALU_DEP_2) | instskip(NEXT) | instid1(VALU_DEP_2)
	v_add_co_u32 v33, vcc_lo, 0x1000, v39
	v_add_co_ci_u32_e32 v34, vcc_lo, 0, v40, vcc_lo
	v_add_co_u32 v35, vcc_lo, v39, 0x2000
	v_add_co_ci_u32_e32 v36, vcc_lo, 0, v40, vcc_lo
	;; [unrolled: 2-line block ×3, first 2 shown]
	s_clause 0x4
	global_store_b64 v[35:36], v[27:28], off
	global_store_b64 v0, v[11:12], s[0:1]
	global_store_b64 v0, v[9:10], s[0:1] offset:2048
	global_store_b64 v[33:34], v[31:32], off offset:2048
	global_store_b64 v[37:38], v[29:30], off offset:2048
	v_add_co_u32 v9, vcc_lo, 0x3000, v39
	v_add_co_ci_u32_e32 v10, vcc_lo, 0, v40, vcc_lo
	v_add_co_u32 v11, vcc_lo, v39, 0x4000
	v_add_co_ci_u32_e32 v12, vcc_lo, 0, v40, vcc_lo
	;; [unrolled: 2-line block ×6, first 2 shown]
	s_clause 0x3
	global_store_b64 v[11:12], v[7:8], off offset:-4096
	global_store_b64 v[11:12], v[13:14], off
	global_store_b64 v[31:32], v[25:26], off offset:-4096
	global_store_b64 v[31:32], v[23:24], off
	v_add_co_u32 v7, vcc_lo, 0x7000, v39
	v_add_co_ci_u32_e32 v8, vcc_lo, 0, v40, vcc_lo
	s_clause 0x6
	global_store_b64 v[9:10], v[5:6], off offset:2048
	global_store_b64 v[27:28], v[3:4], off offset:2048
	;; [unrolled: 1-line block ×4, first 2 shown]
	global_store_b64 v[7:8], v[17:18], off
	global_store_b64 v[35:36], v[1:2], off offset:-4096
	global_store_b64 v[7:8], v[15:16], off offset:2048
	s_nop 0
	s_sendmsg sendmsg(MSG_DEALLOC_VGPRS)
	s_endpgm
	.section	.rodata,"a",@progbits
	.p2align	6, 0x0
	.amdhsa_kernel _Z6kernelI27subtract_right_partial_tileLj256ELj16ELb0EJPxPiS1_jEEvDpT3_
		.amdhsa_group_segment_fixed_size 4096
		.amdhsa_private_segment_fixed_size 0
		.amdhsa_kernarg_size 28
		.amdhsa_user_sgpr_count 15
		.amdhsa_user_sgpr_dispatch_ptr 0
		.amdhsa_user_sgpr_queue_ptr 0
		.amdhsa_user_sgpr_kernarg_segment_ptr 1
		.amdhsa_user_sgpr_dispatch_id 0
		.amdhsa_user_sgpr_private_segment_size 0
		.amdhsa_wavefront_size32 1
		.amdhsa_uses_dynamic_stack 0
		.amdhsa_enable_private_segment 0
		.amdhsa_system_sgpr_workgroup_id_x 1
		.amdhsa_system_sgpr_workgroup_id_y 0
		.amdhsa_system_sgpr_workgroup_id_z 0
		.amdhsa_system_sgpr_workgroup_info 0
		.amdhsa_system_vgpr_workitem_id 0
		.amdhsa_next_free_vgpr 83
		.amdhsa_next_free_sgpr 16
		.amdhsa_reserve_vcc 1
		.amdhsa_float_round_mode_32 0
		.amdhsa_float_round_mode_16_64 0
		.amdhsa_float_denorm_mode_32 3
		.amdhsa_float_denorm_mode_16_64 3
		.amdhsa_dx10_clamp 1
		.amdhsa_ieee_mode 1
		.amdhsa_fp16_overflow 0
		.amdhsa_workgroup_processor_mode 1
		.amdhsa_memory_ordered 1
		.amdhsa_forward_progress 0
		.amdhsa_shared_vgpr_count 0
		.amdhsa_exception_fp_ieee_invalid_op 0
		.amdhsa_exception_fp_denorm_src 0
		.amdhsa_exception_fp_ieee_div_zero 0
		.amdhsa_exception_fp_ieee_overflow 0
		.amdhsa_exception_fp_ieee_underflow 0
		.amdhsa_exception_fp_ieee_inexact 0
		.amdhsa_exception_int_div_zero 0
	.end_amdhsa_kernel
	.section	.text._Z6kernelI27subtract_right_partial_tileLj256ELj16ELb0EJPxPiS1_jEEvDpT3_,"axG",@progbits,_Z6kernelI27subtract_right_partial_tileLj256ELj16ELb0EJPxPiS1_jEEvDpT3_,comdat
.Lfunc_end202:
	.size	_Z6kernelI27subtract_right_partial_tileLj256ELj16ELb0EJPxPiS1_jEEvDpT3_, .Lfunc_end202-_Z6kernelI27subtract_right_partial_tileLj256ELj16ELb0EJPxPiS1_jEEvDpT3_
                                        ; -- End function
	.section	.AMDGPU.csdata,"",@progbits
; Kernel info:
; codeLenInByte = 1752
; NumSgprs: 18
; NumVgprs: 83
; ScratchSize: 0
; MemoryBound: 0
; FloatMode: 240
; IeeeMode: 1
; LDSByteSize: 4096 bytes/workgroup (compile time only)
; SGPRBlocks: 2
; VGPRBlocks: 10
; NumSGPRsForWavesPerEU: 18
; NumVGPRsForWavesPerEU: 83
; Occupancy: 16
; WaveLimiterHint : 1
; COMPUTE_PGM_RSRC2:SCRATCH_EN: 0
; COMPUTE_PGM_RSRC2:USER_SGPR: 15
; COMPUTE_PGM_RSRC2:TRAP_HANDLER: 0
; COMPUTE_PGM_RSRC2:TGID_X_EN: 1
; COMPUTE_PGM_RSRC2:TGID_Y_EN: 0
; COMPUTE_PGM_RSRC2:TGID_Z_EN: 0
; COMPUTE_PGM_RSRC2:TIDIG_COMP_CNT: 0
	.section	.text._Z6kernelI27subtract_right_partial_tileLj256ELj32ELb0EJPxPiS1_jEEvDpT3_,"axG",@progbits,_Z6kernelI27subtract_right_partial_tileLj256ELj32ELb0EJPxPiS1_jEEvDpT3_,comdat
	.protected	_Z6kernelI27subtract_right_partial_tileLj256ELj32ELb0EJPxPiS1_jEEvDpT3_ ; -- Begin function _Z6kernelI27subtract_right_partial_tileLj256ELj32ELb0EJPxPiS1_jEEvDpT3_
	.globl	_Z6kernelI27subtract_right_partial_tileLj256ELj32ELb0EJPxPiS1_jEEvDpT3_
	.p2align	8
	.type	_Z6kernelI27subtract_right_partial_tileLj256ELj32ELb0EJPxPiS1_jEEvDpT3_,@function
_Z6kernelI27subtract_right_partial_tileLj256ELj32ELb0EJPxPiS1_jEEvDpT3_: ; @_Z6kernelI27subtract_right_partial_tileLj256ELj32ELb0EJPxPiS1_jEEvDpT3_
; %bb.0:
	s_clause 0x1
	s_load_b128 s[4:7], s[0:1], 0x0
	s_load_b64 s[8:9], s[0:1], 0x10
	s_mov_b32 s13, 0
	s_lshl_b32 s12, s15, 13
	v_lshlrev_b32_e32 v67, 3, v0
	s_lshl_b64 s[2:3], s[12:13], 3
	s_load_b32 s12, s[0:1], 0x18
	s_mov_b32 s10, s15
	s_delay_alu instid0(VALU_DEP_1) | instskip(SKIP_4) | instid1(VALU_DEP_1)
	v_or_b32_e32 v100, 0x800, v67
	s_waitcnt lgkmcnt(0)
	s_add_u32 s4, s4, s2
	s_addc_u32 s5, s5, s3
	v_add_co_u32 v49, s11, s4, v67
	v_add_co_ci_u32_e64 v50, null, s5, 0, s11
	v_cvt_f32_u32_e32 v65, s12
	s_delay_alu instid0(VALU_DEP_3) | instskip(NEXT) | instid1(VALU_DEP_3)
	v_add_co_u32 v3, vcc_lo, 0x1000, v49
	v_add_co_ci_u32_e32 v4, vcc_lo, 0, v50, vcc_lo
	v_add_co_u32 v5, vcc_lo, v49, 0x2000
	v_add_co_ci_u32_e32 v6, vcc_lo, 0, v50, vcc_lo
	v_add_co_u32 v7, vcc_lo, 0x2000, v49
	v_add_co_ci_u32_e32 v8, vcc_lo, 0, v50, vcc_lo
	v_add_co_u32 v9, vcc_lo, 0x3000, v49
	v_add_co_ci_u32_e32 v10, vcc_lo, 0, v50, vcc_lo
	v_add_co_u32 v11, vcc_lo, v49, 0x4000
	v_add_co_ci_u32_e32 v12, vcc_lo, 0, v50, vcc_lo
	v_add_co_u32 v15, vcc_lo, 0x4000, v49
	v_add_co_ci_u32_e32 v16, vcc_lo, 0, v50, vcc_lo
	s_clause 0x7
	global_load_b64 v[1:2], v[5:6], off offset:-4096
	global_load_b64 v[21:22], v[5:6], off
	global_load_b64 v[13:14], v[11:12], off offset:-4096
	global_load_b64 v[17:18], v[11:12], off
	global_load_b64 v[31:32], v[3:4], off offset:2048
	global_load_b64 v[29:30], v[7:8], off offset:2048
	global_load_b64 v[11:12], v[9:10], off offset:2048
	global_load_b64 v[9:10], v[15:16], off offset:2048
	v_add_co_u32 v3, vcc_lo, 0x5000, v49
	v_add_co_ci_u32_e32 v4, vcc_lo, 0, v50, vcc_lo
	v_add_co_u32 v5, vcc_lo, v49, 0x6000
	v_add_co_ci_u32_e32 v6, vcc_lo, 0, v50, vcc_lo
	v_add_co_u32 v23, vcc_lo, 0x6000, v49
	v_add_co_ci_u32_e32 v24, vcc_lo, 0, v50, vcc_lo
	v_add_co_u32 v33, vcc_lo, 0x7000, v49
	v_add_co_ci_u32_e32 v34, vcc_lo, 0, v50, vcc_lo
	v_add_co_u32 v15, vcc_lo, v49, 0x8000
	v_add_co_ci_u32_e32 v16, vcc_lo, 0, v50, vcc_lo
	v_add_co_u32 v35, vcc_lo, 0x8000, v49
	v_add_co_ci_u32_e32 v36, vcc_lo, 0, v50, vcc_lo
	s_clause 0x7
	global_load_b64 v[27:28], v[5:6], off offset:-4096
	global_load_b64 v[19:20], v[5:6], off
	global_load_b64 v[7:8], v[15:16], off offset:-4096
	global_load_b64 v[15:16], v[15:16], off
	global_load_b64 v[25:26], v[3:4], off offset:2048
	global_load_b64 v[23:24], v[23:24], off offset:2048
	global_load_b64 v[5:6], v[33:34], off offset:2048
	global_load_b64 v[3:4], v[35:36], off offset:2048
	;; [unrolled: 21-line block ×3, first 2 shown]
	v_add_co_u32 v41, vcc_lo, 0xd000, v49
	v_add_co_ci_u32_e32 v42, vcc_lo, 0, v50, vcc_lo
	v_add_co_u32 v43, vcc_lo, v49, 0xe000
	v_add_co_ci_u32_e32 v44, vcc_lo, 0, v50, vcc_lo
	;; [unrolled: 2-line block ×4, first 2 shown]
	s_clause 0x7
	global_load_b64 v[51:52], v[43:44], off offset:-4096
	global_load_b64 v[45:46], v[43:44], off
	global_load_b64 v[49:50], v[41:42], off offset:2048
	global_load_b64 v[47:48], v[47:48], off offset:2048
	global_load_b64 v[43:44], v[61:62], off
	global_load_b64 v[41:42], v[61:62], off offset:2048
	global_load_b64 v[63:64], v67, s[4:5]
	global_load_b64 v[61:62], v67, s[4:5] offset:2048
	v_rcp_iflag_f32_e32 v65, v65
	s_mov_b32 s11, s13
	s_delay_alu instid0(SALU_CYCLE_1) | instskip(NEXT) | instid1(SALU_CYCLE_1)
	s_lshl_b64 s[0:1], s[10:11], 2
	s_add_u32 s0, s6, s0
	s_addc_u32 s1, s7, s1
	s_sub_i32 s5, 0, s12
	s_waitcnt_depctr 0xfff
	v_mul_f32_e32 v65, 0x4f7ffffe, v65
	s_delay_alu instid0(VALU_DEP_1) | instskip(NEXT) | instid1(VALU_DEP_1)
	v_cvt_u32_f32_e32 v65, v65
	v_readfirstlane_b32 s4, v65
	v_lshlrev_b32_e32 v65, 5, v0
	s_delay_alu instid0(VALU_DEP_2) | instskip(NEXT) | instid1(VALU_DEP_1)
	s_mul_i32 s5, s5, s4
	v_or_b32_e32 v68, 1, v65
	s_mul_hi_u32 s5, s4, s5
	v_or_b32_e32 v69, 2, v65
	s_add_i32 s4, s4, s5
	v_or_b32_e32 v70, 3, v65
	s_lshr_b32 s4, s4, 19
	v_or_b32_e32 v71, 4, v65
	s_mul_i32 s5, s4, s12
	s_add_i32 s6, s4, 1
	s_sub_i32 s5, 0x2000, s5
	v_or_b32_e32 v72, 5, v65
	s_sub_i32 s7, s5, s12
	s_cmp_ge_u32 s5, s12
	v_or_b32_e32 v73, 6, v65
	s_cselect_b32 s4, s6, s4
	s_cselect_b32 s5, s7, s5
	s_add_i32 s6, s4, 1
	s_cmp_ge_u32 s5, s12
	v_or_b32_e32 v74, 7, v65
	s_cselect_b32 s5, s6, s4
	s_load_b32 s4, s[0:1], 0x0
	v_or_b32_e32 v75, 8, v65
	v_or_b32_e32 v76, 9, v65
	;; [unrolled: 1-line block ×24, first 2 shown]
	v_add_nc_u32_e32 v99, 32, v65
	s_add_i32 s5, s5, 1
	s_max_u32 s6, s12, 1
	s_branch .LBB203_2
.LBB203_1:                              ;   in Loop: Header=BB203_2 Depth=1
	s_or_b32 exec_lo, exec_lo, s0
	v_cmp_gt_u32_e32 vcc_lo, s4, v68
	v_cmp_gt_u32_e64 s0, s4, v69
	v_cmp_gt_u32_e64 s1, s4, v70
	s_add_i32 s6, s6, -1
	v_cndmask_b32_e32 v103, 0, v61, vcc_lo
	v_cndmask_b32_e32 v101, 0, v62, vcc_lo
	v_cndmask_b32_e64 v105, 0, v1, s0
	v_cndmask_b32_e64 v102, 0, v2, s0
	v_cmp_gt_u32_e64 s0, s4, v72
	v_sub_co_u32 v103, vcc_lo, v63, v103
	v_sub_co_ci_u32_e32 v101, vcc_lo, v64, v101, vcc_lo
	v_sub_co_u32 v105, vcc_lo, v61, v105
	v_sub_co_ci_u32_e32 v102, vcc_lo, v62, v102, vcc_lo
	v_cmp_gt_u32_e32 vcc_lo, s4, v71
	v_cndmask_b32_e64 v110, 0, v29, s0
	v_cndmask_b32_e64 v109, 0, v30, s0
	;; [unrolled: 1-line block ×4, first 2 shown]
	v_dual_cndmask_b32 v108, 0, v21 :: v_dual_cndmask_b32 v107, 0, v22
	v_cmp_gt_u32_e32 vcc_lo, s4, v73
	s_delay_alu instid0(VALU_DEP_4) | instskip(NEXT) | instid1(VALU_DEP_3)
	v_sub_co_u32 v106, s1, v1, v106
	v_sub_co_u32 v108, s0, v31, v108
	v_dual_cndmask_b32 v112, 0, v13 :: v_dual_cndmask_b32 v111, 0, v14
	v_sub_co_u32 v110, vcc_lo, v21, v110
	v_sub_co_ci_u32_e32 v109, vcc_lo, v22, v109, vcc_lo
	s_delay_alu instid0(VALU_DEP_3) | instskip(NEXT) | instid1(VALU_DEP_4)
	v_sub_co_u32 v112, vcc_lo, v29, v112
	v_sub_co_ci_u32_e32 v111, vcc_lo, v30, v111, vcc_lo
	v_cmp_gt_u32_e32 vcc_lo, s4, v74
	v_sub_co_ci_u32_e64 v107, s0, v32, v107, s0
	v_add_co_u32 v63, s0, v103, v63
	v_cndmask_b32_e32 v113, 0, v12, vcc_lo
	v_add_co_ci_u32_e64 v64, s0, v101, v64, s0
	v_cndmask_b32_e32 v101, 0, v11, vcc_lo
	v_cmp_gt_u32_e32 vcc_lo, s4, v75
	v_add_co_u32 v61, s0, v105, v61
	s_delay_alu instid0(VALU_DEP_1)
	v_add_co_ci_u32_e64 v62, s0, v102, v62, s0
	v_dual_cndmask_b32 v103, 0, v18 :: v_dual_cndmask_b32 v102, 0, v17
	v_sub_co_u32 v101, vcc_lo, v13, v101
	v_sub_co_ci_u32_e32 v105, vcc_lo, v14, v113, vcc_lo
	v_sub_co_ci_u32_e64 v104, s1, v2, v104, s1
	v_cmp_gt_u32_e32 vcc_lo, s4, v76
	v_add_co_u32 v1, s0, v106, v1
	s_delay_alu instid0(VALU_DEP_1) | instskip(SKIP_3) | instid1(VALU_DEP_3)
	v_add_co_ci_u32_e64 v2, s0, v104, v2, s0
	v_dual_cndmask_b32 v104, 0, v9 :: v_dual_cndmask_b32 v113, 0, v10
	v_sub_co_u32 v102, vcc_lo, v11, v102
	v_sub_co_ci_u32_e32 v103, vcc_lo, v12, v103, vcc_lo
	v_sub_co_u32 v104, vcc_lo, v17, v104
	s_delay_alu instid0(VALU_DEP_4) | instskip(SKIP_2) | instid1(VALU_DEP_1)
	v_sub_co_ci_u32_e32 v106, vcc_lo, v18, v113, vcc_lo
	v_cmp_gt_u32_e32 vcc_lo, s4, v77
	v_add_co_u32 v31, s0, v108, v31
	v_add_co_ci_u32_e64 v32, s0, v107, v32, s0
	v_cndmask_b32_e32 v113, 0, v28, vcc_lo
	v_cndmask_b32_e32 v107, 0, v27, vcc_lo
	v_cmp_gt_u32_e32 vcc_lo, s4, v78
	v_add_co_u32 v21, s0, v110, v21
	s_delay_alu instid0(VALU_DEP_1) | instskip(SKIP_3) | instid1(VALU_DEP_3)
	v_add_co_ci_u32_e64 v22, s0, v109, v22, s0
	v_dual_cndmask_b32 v109, 0, v25 :: v_dual_cndmask_b32 v108, 0, v26
	v_sub_co_u32 v107, vcc_lo, v9, v107
	v_sub_co_ci_u32_e32 v110, vcc_lo, v10, v113, vcc_lo
	v_sub_co_u32 v109, vcc_lo, v27, v109
	s_delay_alu instid0(VALU_DEP_4) | instskip(SKIP_2) | instid1(VALU_DEP_1)
	v_sub_co_ci_u32_e32 v108, vcc_lo, v28, v108, vcc_lo
	v_cmp_gt_u32_e32 vcc_lo, s4, v79
	v_add_co_u32 v29, s0, v112, v29
	v_add_co_ci_u32_e64 v30, s0, v111, v30, s0
	v_cndmask_b32_e32 v113, 0, v20, vcc_lo
	v_cndmask_b32_e32 v111, 0, v19, vcc_lo
	v_cmp_gt_u32_e32 vcc_lo, s4, v80
	v_add_co_u32 v13, s0, v101, v13
	s_delay_alu instid0(VALU_DEP_1) | instskip(SKIP_3) | instid1(VALU_DEP_3)
	v_add_co_ci_u32_e64 v14, s0, v105, v14, s0
	v_dual_cndmask_b32 v101, 0, v23 :: v_dual_cndmask_b32 v112, 0, v24
	v_sub_co_u32 v105, vcc_lo, v25, v111
	v_sub_co_ci_u32_e32 v111, vcc_lo, v26, v113, vcc_lo
	v_sub_co_u32 v101, vcc_lo, v19, v101
	s_delay_alu instid0(VALU_DEP_4) | instskip(SKIP_2) | instid1(VALU_DEP_1)
	v_sub_co_ci_u32_e32 v112, vcc_lo, v20, v112, vcc_lo
	v_cmp_gt_u32_e32 vcc_lo, s4, v81
	v_add_co_u32 v11, s0, v102, v11
	v_add_co_ci_u32_e64 v12, s0, v103, v12, s0
	v_dual_cndmask_b32 v113, 0, v8 :: v_dual_cndmask_b32 v102, 0, v7
	v_cmp_gt_u32_e32 vcc_lo, s4, v82
	v_add_co_u32 v17, s0, v104, v17
	s_delay_alu instid0(VALU_DEP_1) | instskip(SKIP_3) | instid1(VALU_DEP_3)
	v_add_co_ci_u32_e64 v18, s0, v106, v18, s0
	v_dual_cndmask_b32 v104, 0, v5 :: v_dual_cndmask_b32 v103, 0, v6
	v_sub_co_u32 v102, vcc_lo, v23, v102
	v_sub_co_ci_u32_e32 v106, vcc_lo, v24, v113, vcc_lo
	v_sub_co_u32 v104, vcc_lo, v7, v104
	s_delay_alu instid0(VALU_DEP_4) | instskip(SKIP_2) | instid1(VALU_DEP_1)
	v_sub_co_ci_u32_e32 v103, vcc_lo, v8, v103, vcc_lo
	v_cmp_gt_u32_e32 vcc_lo, s4, v83
	v_add_co_u32 v9, s0, v107, v9
	v_add_co_ci_u32_e64 v10, s0, v110, v10, s0
	v_cndmask_b32_e32 v113, 0, v16, vcc_lo
	v_cndmask_b32_e32 v107, 0, v15, vcc_lo
	v_cmp_gt_u32_e32 vcc_lo, s4, v84
	v_add_co_u32 v27, s0, v109, v27
	s_delay_alu instid0(VALU_DEP_1) | instskip(SKIP_4) | instid1(VALU_DEP_4)
	v_add_co_ci_u32_e64 v28, s0, v108, v28, s0
	v_cndmask_b32_e32 v108, 0, v3, vcc_lo
	v_cndmask_b32_e32 v110, 0, v4, vcc_lo
	v_sub_co_u32 v107, vcc_lo, v5, v107
	v_sub_co_ci_u32_e32 v109, vcc_lo, v6, v113, vcc_lo
	v_sub_co_u32 v108, vcc_lo, v15, v108
	s_delay_alu instid0(VALU_DEP_4) | instskip(SKIP_2) | instid1(VALU_DEP_1)
	v_sub_co_ci_u32_e32 v110, vcc_lo, v16, v110, vcc_lo
	v_cmp_gt_u32_e32 vcc_lo, s4, v85
	v_add_co_u32 v25, s0, v105, v25
	v_add_co_ci_u32_e64 v26, s0, v111, v26, s0
	v_cndmask_b32_e32 v113, 0, v60, vcc_lo
	v_cndmask_b32_e32 v105, 0, v59, vcc_lo
	v_cmp_gt_u32_e32 vcc_lo, s4, v86
	v_add_co_u32 v19, s0, v101, v19
	s_delay_alu instid0(VALU_DEP_1) | instskip(SKIP_4) | instid1(VALU_DEP_4)
	v_add_co_ci_u32_e64 v20, s0, v112, v20, s0
	v_cndmask_b32_e32 v101, 0, v57, vcc_lo
	v_cndmask_b32_e32 v111, 0, v58, vcc_lo
	v_sub_co_u32 v105, vcc_lo, v3, v105
	v_sub_co_ci_u32_e32 v112, vcc_lo, v4, v113, vcc_lo
	v_sub_co_u32 v101, vcc_lo, v59, v101
	s_delay_alu instid0(VALU_DEP_4) | instskip(SKIP_2) | instid1(VALU_DEP_1)
	v_sub_co_ci_u32_e32 v111, vcc_lo, v60, v111, vcc_lo
	v_cmp_gt_u32_e32 vcc_lo, s4, v87
	v_add_co_u32 v23, s0, v102, v23
	v_add_co_ci_u32_e64 v24, s0, v106, v24, s0
	v_dual_cndmask_b32 v113, 0, v54 :: v_dual_cndmask_b32 v102, 0, v53
	v_cmp_gt_u32_e32 vcc_lo, s4, v88
	v_add_co_u32 v7, s0, v104, v7
	s_delay_alu instid0(VALU_DEP_1) | instskip(SKIP_3) | instid1(VALU_DEP_3)
	v_add_co_ci_u32_e64 v8, s0, v103, v8, s0
	v_dual_cndmask_b32 v103, 0, v55 :: v_dual_cndmask_b32 v106, 0, v56
	v_sub_co_u32 v102, vcc_lo, v57, v102
	v_sub_co_ci_u32_e32 v104, vcc_lo, v58, v113, vcc_lo
	v_sub_co_u32 v103, vcc_lo, v53, v103
	s_delay_alu instid0(VALU_DEP_4) | instskip(SKIP_2) | instid1(VALU_DEP_1)
	v_sub_co_ci_u32_e32 v106, vcc_lo, v54, v106, vcc_lo
	v_cmp_gt_u32_e32 vcc_lo, s4, v89
	v_add_co_u32 v5, s0, v107, v5
	v_add_co_ci_u32_e64 v6, s0, v109, v6, s0
	v_cndmask_b32_e32 v113, 0, v40, vcc_lo
	v_cndmask_b32_e32 v107, 0, v39, vcc_lo
	v_cmp_gt_u32_e32 vcc_lo, s4, v90
	v_add_co_u32 v15, s0, v108, v15
	s_delay_alu instid0(VALU_DEP_1) | instskip(SKIP_3) | instid1(VALU_DEP_3)
	v_add_co_ci_u32_e64 v16, s0, v110, v16, s0
	v_dual_cndmask_b32 v108, 0, v35 :: v_dual_cndmask_b32 v109, 0, v36
	v_sub_co_u32 v107, vcc_lo, v55, v107
	v_sub_co_ci_u32_e32 v110, vcc_lo, v56, v113, vcc_lo
	v_sub_co_u32 v108, vcc_lo, v39, v108
	s_delay_alu instid0(VALU_DEP_4) | instskip(SKIP_2) | instid1(VALU_DEP_1)
	v_sub_co_ci_u32_e32 v109, vcc_lo, v40, v109, vcc_lo
	v_cmp_gt_u32_e32 vcc_lo, s4, v91
	v_add_co_u32 v3, s0, v105, v3
	v_add_co_ci_u32_e64 v4, s0, v112, v4, s0
	v_cndmask_b32_e32 v113, 0, v38, vcc_lo
	v_cndmask_b32_e32 v105, 0, v37, vcc_lo
	v_cmp_gt_u32_e32 vcc_lo, s4, v92
	v_add_co_u32 v59, s0, v101, v59
	s_delay_alu instid0(VALU_DEP_1) | instskip(SKIP_3) | instid1(VALU_DEP_3)
	v_add_co_ci_u32_e64 v60, s0, v111, v60, s0
	v_dual_cndmask_b32 v101, 0, v33 :: v_dual_cndmask_b32 v112, 0, v34
	v_sub_co_u32 v105, vcc_lo, v35, v105
	v_sub_co_ci_u32_e32 v111, vcc_lo, v36, v113, vcc_lo
	v_sub_co_u32 v101, vcc_lo, v37, v101
	s_delay_alu instid0(VALU_DEP_4) | instskip(SKIP_2) | instid1(VALU_DEP_1)
	v_sub_co_ci_u32_e32 v112, vcc_lo, v38, v112, vcc_lo
	v_cmp_gt_u32_e32 vcc_lo, s4, v93
	v_add_co_u32 v57, s0, v102, v57
	v_add_co_ci_u32_e64 v58, s0, v104, v58, s0
	v_dual_cndmask_b32 v113, 0, v52 :: v_dual_cndmask_b32 v102, 0, v51
	v_cmp_gt_u32_e32 vcc_lo, s4, v94
	v_add_co_u32 v53, s0, v103, v53
	s_delay_alu instid0(VALU_DEP_1) | instskip(SKIP_3) | instid1(VALU_DEP_3)
	v_add_co_ci_u32_e64 v54, s0, v106, v54, s0
	v_dual_cndmask_b32 v103, 0, v49 :: v_dual_cndmask_b32 v104, 0, v50
	v_sub_co_u32 v102, vcc_lo, v33, v102
	v_sub_co_ci_u32_e32 v106, vcc_lo, v34, v113, vcc_lo
	v_sub_co_u32 v103, vcc_lo, v51, v103
	s_delay_alu instid0(VALU_DEP_4) | instskip(SKIP_2) | instid1(VALU_DEP_1)
	v_sub_co_ci_u32_e32 v104, vcc_lo, v52, v104, vcc_lo
	v_cmp_gt_u32_e32 vcc_lo, s4, v95
	v_add_co_u32 v55, s0, v107, v55
	v_add_co_ci_u32_e64 v56, s0, v110, v56, s0
	v_cndmask_b32_e32 v113, 0, v46, vcc_lo
	v_cndmask_b32_e32 v107, 0, v45, vcc_lo
	v_cmp_gt_u32_e32 vcc_lo, s4, v96
	v_add_co_u32 v39, s0, v108, v39
	s_delay_alu instid0(VALU_DEP_1) | instskip(SKIP_4) | instid1(VALU_DEP_3)
	v_add_co_ci_u32_e64 v40, s0, v109, v40, s0
	v_cndmask_b32_e32 v110, 0, v48, vcc_lo
	v_cndmask_b32_e32 v108, 0, v47, vcc_lo
	v_sub_co_u32 v107, vcc_lo, v49, v107
	v_sub_co_ci_u32_e32 v109, vcc_lo, v50, v113, vcc_lo
	v_sub_co_u32 v108, vcc_lo, v45, v108
	v_sub_co_ci_u32_e32 v110, vcc_lo, v46, v110, vcc_lo
	v_cmp_gt_u32_e32 vcc_lo, s4, v97
	v_add_co_u32 v35, s0, v105, v35
	s_delay_alu instid0(VALU_DEP_1) | instskip(SKIP_4) | instid1(VALU_DEP_1)
	v_add_co_ci_u32_e64 v36, s0, v111, v36, s0
	v_cndmask_b32_e32 v113, 0, v44, vcc_lo
	v_cndmask_b32_e32 v105, 0, v43, vcc_lo
	v_cmp_gt_u32_e32 vcc_lo, s4, v98
	v_add_co_u32 v37, s0, v101, v37
	v_add_co_ci_u32_e64 v38, s0, v112, v38, s0
	v_cndmask_b32_e32 v101, 0, v41, vcc_lo
	v_cndmask_b32_e32 v111, 0, v42, vcc_lo
	v_sub_co_u32 v105, vcc_lo, v47, v105
	v_sub_co_ci_u32_e32 v112, vcc_lo, v48, v113, vcc_lo
	s_delay_alu instid0(VALU_DEP_4) | instskip(NEXT) | instid1(VALU_DEP_4)
	v_sub_co_u32 v101, vcc_lo, v43, v101
	v_sub_co_ci_u32_e32 v111, vcc_lo, v44, v111, vcc_lo
	v_add_co_u32 v33, vcc_lo, v102, v33
	v_add_co_ci_u32_e32 v34, vcc_lo, v106, v34, vcc_lo
	v_add_co_u32 v51, vcc_lo, v103, v51
	v_add_co_ci_u32_e32 v52, vcc_lo, v104, v52, vcc_lo
	;; [unrolled: 2-line block ×6, first 2 shown]
	v_add_co_u32 v41, vcc_lo, v65, v41
	s_add_i32 s0, s5, s4
	v_add_co_ci_u32_e32 v42, vcc_lo, v66, v42, vcc_lo
	s_and_b32 s4, s0, 0x1fff
	s_cmp_lg_u32 s6, 0
	s_barrier
	buffer_gl0_inv
	s_cbranch_scc0 .LBB203_4
.LBB203_2:                              ; =>This Inner Loop Header: Depth=1
	s_waitcnt vmcnt(2)
	v_dual_mov_b32 v66, v42 :: v_dual_mov_b32 v65, v41
	s_mov_b32 s0, exec_lo
	s_waitcnt vmcnt(1)
	ds_store_b64 v67, v[63:64] offset:2048
	s_waitcnt vmcnt(0) lgkmcnt(0)
	s_barrier
	buffer_gl0_inv
	v_cmpx_gt_u32_e64 s4, v99
	s_cbranch_execz .LBB203_1
; %bb.3:                                ;   in Loop: Header=BB203_2 Depth=1
	ds_load_b64 v[65:66], v100 offset:8
	s_waitcnt lgkmcnt(0)
	v_sub_co_u32 v65, vcc_lo, v41, v65
	v_sub_co_ci_u32_e32 v66, vcc_lo, v42, v66, vcc_lo
	s_branch .LBB203_1
.LBB203_4:
	v_lshlrev_b32_e32 v0, 3, v0
	s_add_u32 s0, s8, s2
	s_addc_u32 s1, s9, s3
	s_delay_alu instid0(VALU_DEP_1) | instskip(NEXT) | instid1(VALU_DEP_1)
	v_add_co_u32 v71, s2, s0, v0
	v_add_co_ci_u32_e64 v72, null, s1, 0, s2
	s_delay_alu instid0(VALU_DEP_2) | instskip(NEXT) | instid1(VALU_DEP_2)
	v_add_co_u32 v65, vcc_lo, 0x1000, v71
	v_add_co_ci_u32_e32 v66, vcc_lo, 0, v72, vcc_lo
	v_add_co_u32 v67, vcc_lo, v71, 0x2000
	v_add_co_ci_u32_e32 v68, vcc_lo, 0, v72, vcc_lo
	;; [unrolled: 2-line block ×3, first 2 shown]
	s_clause 0x4
	global_store_b64 v[67:68], v[21:22], off
	global_store_b64 v0, v[63:64], s[0:1]
	global_store_b64 v0, v[61:62], s[0:1] offset:2048
	global_store_b64 v[65:66], v[31:32], off offset:2048
	global_store_b64 v[69:70], v[29:30], off offset:2048
	v_add_co_u32 v21, vcc_lo, 0x3000, v71
	v_add_co_ci_u32_e32 v22, vcc_lo, 0, v72, vcc_lo
	v_add_co_u32 v29, vcc_lo, v71, 0x4000
	v_add_co_ci_u32_e32 v30, vcc_lo, 0, v72, vcc_lo
	;; [unrolled: 2-line block ×6, first 2 shown]
	s_clause 0x7
	global_store_b64 v[29:30], v[13:14], off offset:-4096
	global_store_b64 v[29:30], v[17:18], off
	global_store_b64 v[63:64], v[27:28], off offset:-4096
	global_store_b64 v[63:64], v[19:20], off
	global_store_b64 v[21:22], v[11:12], off offset:2048
	global_store_b64 v[31:32], v[9:10], off offset:2048
	global_store_b64 v[61:62], v[25:26], off offset:2048
	global_store_b64 v[65:66], v[23:24], off offset:2048
	v_add_co_u32 v9, vcc_lo, 0x7000, v71
	v_add_co_ci_u32_e32 v10, vcc_lo, 0, v72, vcc_lo
	v_add_co_u32 v11, vcc_lo, v71, 0x8000
	v_add_co_ci_u32_e32 v12, vcc_lo, 0, v72, vcc_lo
	;; [unrolled: 2-line block ×6, first 2 shown]
	s_clause 0x7
	global_store_b64 v[11:12], v[7:8], off offset:-4096
	global_store_b64 v[11:12], v[15:16], off
	global_store_b64 v[19:20], v[59:60], off offset:-4096
	global_store_b64 v[19:20], v[53:54], off
	global_store_b64 v[9:10], v[5:6], off offset:2048
	global_store_b64 v[13:14], v[3:4], off offset:2048
	;; [unrolled: 1-line block ×4, first 2 shown]
	v_add_co_u32 v3, vcc_lo, 0xb000, v71
	v_add_co_ci_u32_e32 v4, vcc_lo, 0, v72, vcc_lo
	v_add_co_u32 v5, vcc_lo, v71, 0xc000
	v_add_co_ci_u32_e32 v6, vcc_lo, 0, v72, vcc_lo
	;; [unrolled: 2-line block ×6, first 2 shown]
	s_clause 0x3
	global_store_b64 v[5:6], v[39:40], off offset:-4096
	global_store_b64 v[5:6], v[37:38], off
	global_store_b64 v[11:12], v[51:52], off offset:-4096
	global_store_b64 v[11:12], v[45:46], off
	v_add_co_u32 v5, vcc_lo, 0xf000, v71
	v_add_co_ci_u32_e32 v6, vcc_lo, 0, v72, vcc_lo
	s_clause 0x6
	global_store_b64 v[3:4], v[35:36], off offset:2048
	global_store_b64 v[7:8], v[33:34], off offset:2048
	;; [unrolled: 1-line block ×4, first 2 shown]
	global_store_b64 v[5:6], v[43:44], off
	global_store_b64 v[67:68], v[1:2], off offset:-4096
	global_store_b64 v[5:6], v[41:42], off offset:2048
	s_nop 0
	s_sendmsg sendmsg(MSG_DEALLOC_VGPRS)
	s_endpgm
	.section	.rodata,"a",@progbits
	.p2align	6, 0x0
	.amdhsa_kernel _Z6kernelI27subtract_right_partial_tileLj256ELj32ELb0EJPxPiS1_jEEvDpT3_
		.amdhsa_group_segment_fixed_size 4096
		.amdhsa_private_segment_fixed_size 0
		.amdhsa_kernarg_size 28
		.amdhsa_user_sgpr_count 15
		.amdhsa_user_sgpr_dispatch_ptr 0
		.amdhsa_user_sgpr_queue_ptr 0
		.amdhsa_user_sgpr_kernarg_segment_ptr 1
		.amdhsa_user_sgpr_dispatch_id 0
		.amdhsa_user_sgpr_private_segment_size 0
		.amdhsa_wavefront_size32 1
		.amdhsa_uses_dynamic_stack 0
		.amdhsa_enable_private_segment 0
		.amdhsa_system_sgpr_workgroup_id_x 1
		.amdhsa_system_sgpr_workgroup_id_y 0
		.amdhsa_system_sgpr_workgroup_id_z 0
		.amdhsa_system_sgpr_workgroup_info 0
		.amdhsa_system_vgpr_workitem_id 0
		.amdhsa_next_free_vgpr 114
		.amdhsa_next_free_sgpr 16
		.amdhsa_reserve_vcc 1
		.amdhsa_float_round_mode_32 0
		.amdhsa_float_round_mode_16_64 0
		.amdhsa_float_denorm_mode_32 3
		.amdhsa_float_denorm_mode_16_64 3
		.amdhsa_dx10_clamp 1
		.amdhsa_ieee_mode 1
		.amdhsa_fp16_overflow 0
		.amdhsa_workgroup_processor_mode 1
		.amdhsa_memory_ordered 1
		.amdhsa_forward_progress 0
		.amdhsa_shared_vgpr_count 0
		.amdhsa_exception_fp_ieee_invalid_op 0
		.amdhsa_exception_fp_denorm_src 0
		.amdhsa_exception_fp_ieee_div_zero 0
		.amdhsa_exception_fp_ieee_overflow 0
		.amdhsa_exception_fp_ieee_underflow 0
		.amdhsa_exception_fp_ieee_inexact 0
		.amdhsa_exception_int_div_zero 0
	.end_amdhsa_kernel
	.section	.text._Z6kernelI27subtract_right_partial_tileLj256ELj32ELb0EJPxPiS1_jEEvDpT3_,"axG",@progbits,_Z6kernelI27subtract_right_partial_tileLj256ELj32ELb0EJPxPiS1_jEEvDpT3_,comdat
.Lfunc_end203:
	.size	_Z6kernelI27subtract_right_partial_tileLj256ELj32ELb0EJPxPiS1_jEEvDpT3_, .Lfunc_end203-_Z6kernelI27subtract_right_partial_tileLj256ELj32ELb0EJPxPiS1_jEEvDpT3_
                                        ; -- End function
	.section	.AMDGPU.csdata,"",@progbits
; Kernel info:
; codeLenInByte = 3164
; NumSgprs: 18
; NumVgprs: 114
; ScratchSize: 0
; MemoryBound: 0
; FloatMode: 240
; IeeeMode: 1
; LDSByteSize: 4096 bytes/workgroup (compile time only)
; SGPRBlocks: 2
; VGPRBlocks: 14
; NumSGPRsForWavesPerEU: 18
; NumVGPRsForWavesPerEU: 114
; Occupancy: 12
; WaveLimiterHint : 1
; COMPUTE_PGM_RSRC2:SCRATCH_EN: 0
; COMPUTE_PGM_RSRC2:USER_SGPR: 15
; COMPUTE_PGM_RSRC2:TRAP_HANDLER: 0
; COMPUTE_PGM_RSRC2:TGID_X_EN: 1
; COMPUTE_PGM_RSRC2:TGID_Y_EN: 0
; COMPUTE_PGM_RSRC2:TGID_Z_EN: 0
; COMPUTE_PGM_RSRC2:TIDIG_COMP_CNT: 0
	.section	.text._Z6kernelI27subtract_right_partial_tileLj256ELj1ELb0EJPdPiS1_jEEvDpT3_,"axG",@progbits,_Z6kernelI27subtract_right_partial_tileLj256ELj1ELb0EJPdPiS1_jEEvDpT3_,comdat
	.protected	_Z6kernelI27subtract_right_partial_tileLj256ELj1ELb0EJPdPiS1_jEEvDpT3_ ; -- Begin function _Z6kernelI27subtract_right_partial_tileLj256ELj1ELb0EJPdPiS1_jEEvDpT3_
	.globl	_Z6kernelI27subtract_right_partial_tileLj256ELj1ELb0EJPdPiS1_jEEvDpT3_
	.p2align	8
	.type	_Z6kernelI27subtract_right_partial_tileLj256ELj1ELb0EJPdPiS1_jEEvDpT3_,@function
_Z6kernelI27subtract_right_partial_tileLj256ELj1ELb0EJPdPiS1_jEEvDpT3_: ; @_Z6kernelI27subtract_right_partial_tileLj256ELj1ELb0EJPdPiS1_jEEvDpT3_
; %bb.0:
	s_clause 0x1
	s_load_b128 s[8:11], s[0:1], 0x0
	s_load_b64 s[4:5], s[0:1], 0x10
	s_lshl_b32 s12, s15, 8
	s_mov_b32 s13, 0
	v_lshlrev_b32_e32 v5, 3, v0
	s_lshl_b64 s[2:3], s[12:13], 3
	s_mov_b32 s6, s15
	s_mov_b32 s7, s13
	v_add_nc_u32_e32 v6, 1, v0
	v_or_b32_e32 v7, 0x800, v5
	s_waitcnt lgkmcnt(0)
	s_add_u32 s8, s8, s2
	s_addc_u32 s9, s9, s3
	global_load_b64 v[1:2], v5, s[8:9]
	s_load_b32 s8, s[0:1], 0x18
	s_lshl_b64 s[0:1], s[6:7], 2
	s_delay_alu instid0(SALU_CYCLE_1)
	s_add_u32 s0, s10, s0
	s_addc_u32 s1, s11, s1
	s_load_b32 s0, s[0:1], 0x0
	s_waitcnt lgkmcnt(0)
	v_cvt_f32_u32_e32 v3, s8
	s_sub_i32 s7, 0, s8
	s_delay_alu instid0(VALU_DEP_1) | instskip(SKIP_2) | instid1(VALU_DEP_1)
	v_rcp_iflag_f32_e32 v3, v3
	s_waitcnt_depctr 0xfff
	v_mul_f32_e32 v3, 0x4f7ffffe, v3
	v_cvt_u32_f32_e32 v3, v3
	s_delay_alu instid0(VALU_DEP_1) | instskip(NEXT) | instid1(VALU_DEP_1)
	v_readfirstlane_b32 s6, v3
	s_mul_i32 s7, s7, s6
	s_delay_alu instid0(SALU_CYCLE_1) | instskip(NEXT) | instid1(SALU_CYCLE_1)
	s_mul_hi_u32 s7, s6, s7
	s_add_i32 s6, s6, s7
	s_delay_alu instid0(SALU_CYCLE_1) | instskip(NEXT) | instid1(SALU_CYCLE_1)
	s_lshr_b32 s6, s6, 24
	s_mul_i32 s1, s6, s8
	s_add_i32 s7, s6, 1
	s_sub_i32 s1, 0x100, s1
	s_delay_alu instid0(SALU_CYCLE_1)
	s_sub_i32 s9, s1, s8
	s_cmp_ge_u32 s1, s8
	s_cselect_b32 s6, s7, s6
	s_cselect_b32 s1, s9, s1
	s_add_i32 s7, s6, 1
	s_cmp_ge_u32 s1, s8
	s_cselect_b32 s1, s7, s6
	s_max_u32 s6, s8, 1
	s_add_i32 s1, s1, 1
	s_branch .LBB204_2
	.p2align	6
.LBB204_1:                              ;   in Loop: Header=BB204_2 Depth=1
	s_or_b32 exec_lo, exec_lo, s7
	s_delay_alu instid0(VALU_DEP_1)
	v_add_f64 v[1:2], v[1:2], v[3:4]
	s_add_i32 s0, s1, s0
	s_add_i32 s6, s6, -1
	s_and_b32 s0, s0, 0xff
	s_cmp_lg_u32 s6, 0
	s_barrier
	buffer_gl0_inv
	s_cbranch_scc0 .LBB204_4
.LBB204_2:                              ; =>This Inner Loop Header: Depth=1
	s_waitcnt vmcnt(0)
	v_dual_mov_b32 v4, v2 :: v_dual_mov_b32 v3, v1
	s_mov_b32 s7, exec_lo
	ds_store_b64 v5, v[1:2] offset:2048
	s_waitcnt lgkmcnt(0)
	s_barrier
	buffer_gl0_inv
	v_cmpx_gt_u32_e64 s0, v6
	s_cbranch_execz .LBB204_1
; %bb.3:                                ;   in Loop: Header=BB204_2 Depth=1
	ds_load_b64 v[3:4], v7 offset:8
	s_waitcnt lgkmcnt(0)
	v_add_f64 v[3:4], v[1:2], -v[3:4]
	s_branch .LBB204_1
.LBB204_4:
	v_lshlrev_b32_e32 v0, 3, v0
	s_add_u32 s0, s4, s2
	s_addc_u32 s1, s5, s3
	global_store_b64 v0, v[1:2], s[0:1]
	s_nop 0
	s_sendmsg sendmsg(MSG_DEALLOC_VGPRS)
	s_endpgm
	.section	.rodata,"a",@progbits
	.p2align	6, 0x0
	.amdhsa_kernel _Z6kernelI27subtract_right_partial_tileLj256ELj1ELb0EJPdPiS1_jEEvDpT3_
		.amdhsa_group_segment_fixed_size 4096
		.amdhsa_private_segment_fixed_size 0
		.amdhsa_kernarg_size 28
		.amdhsa_user_sgpr_count 15
		.amdhsa_user_sgpr_dispatch_ptr 0
		.amdhsa_user_sgpr_queue_ptr 0
		.amdhsa_user_sgpr_kernarg_segment_ptr 1
		.amdhsa_user_sgpr_dispatch_id 0
		.amdhsa_user_sgpr_private_segment_size 0
		.amdhsa_wavefront_size32 1
		.amdhsa_uses_dynamic_stack 0
		.amdhsa_enable_private_segment 0
		.amdhsa_system_sgpr_workgroup_id_x 1
		.amdhsa_system_sgpr_workgroup_id_y 0
		.amdhsa_system_sgpr_workgroup_id_z 0
		.amdhsa_system_sgpr_workgroup_info 0
		.amdhsa_system_vgpr_workitem_id 0
		.amdhsa_next_free_vgpr 8
		.amdhsa_next_free_sgpr 16
		.amdhsa_reserve_vcc 0
		.amdhsa_float_round_mode_32 0
		.amdhsa_float_round_mode_16_64 0
		.amdhsa_float_denorm_mode_32 3
		.amdhsa_float_denorm_mode_16_64 3
		.amdhsa_dx10_clamp 1
		.amdhsa_ieee_mode 1
		.amdhsa_fp16_overflow 0
		.amdhsa_workgroup_processor_mode 1
		.amdhsa_memory_ordered 1
		.amdhsa_forward_progress 0
		.amdhsa_shared_vgpr_count 0
		.amdhsa_exception_fp_ieee_invalid_op 0
		.amdhsa_exception_fp_denorm_src 0
		.amdhsa_exception_fp_ieee_div_zero 0
		.amdhsa_exception_fp_ieee_overflow 0
		.amdhsa_exception_fp_ieee_underflow 0
		.amdhsa_exception_fp_ieee_inexact 0
		.amdhsa_exception_int_div_zero 0
	.end_amdhsa_kernel
	.section	.text._Z6kernelI27subtract_right_partial_tileLj256ELj1ELb0EJPdPiS1_jEEvDpT3_,"axG",@progbits,_Z6kernelI27subtract_right_partial_tileLj256ELj1ELb0EJPdPiS1_jEEvDpT3_,comdat
.Lfunc_end204:
	.size	_Z6kernelI27subtract_right_partial_tileLj256ELj1ELb0EJPdPiS1_jEEvDpT3_, .Lfunc_end204-_Z6kernelI27subtract_right_partial_tileLj256ELj1ELb0EJPdPiS1_jEEvDpT3_
                                        ; -- End function
	.section	.AMDGPU.csdata,"",@progbits
; Kernel info:
; codeLenInByte = 396
; NumSgprs: 16
; NumVgprs: 8
; ScratchSize: 0
; MemoryBound: 0
; FloatMode: 240
; IeeeMode: 1
; LDSByteSize: 4096 bytes/workgroup (compile time only)
; SGPRBlocks: 1
; VGPRBlocks: 0
; NumSGPRsForWavesPerEU: 16
; NumVGPRsForWavesPerEU: 8
; Occupancy: 16
; WaveLimiterHint : 0
; COMPUTE_PGM_RSRC2:SCRATCH_EN: 0
; COMPUTE_PGM_RSRC2:USER_SGPR: 15
; COMPUTE_PGM_RSRC2:TRAP_HANDLER: 0
; COMPUTE_PGM_RSRC2:TGID_X_EN: 1
; COMPUTE_PGM_RSRC2:TGID_Y_EN: 0
; COMPUTE_PGM_RSRC2:TGID_Z_EN: 0
; COMPUTE_PGM_RSRC2:TIDIG_COMP_CNT: 0
	.section	.text._Z6kernelI27subtract_right_partial_tileLj256ELj3ELb0EJPdPiS1_jEEvDpT3_,"axG",@progbits,_Z6kernelI27subtract_right_partial_tileLj256ELj3ELb0EJPdPiS1_jEEvDpT3_,comdat
	.protected	_Z6kernelI27subtract_right_partial_tileLj256ELj3ELb0EJPdPiS1_jEEvDpT3_ ; -- Begin function _Z6kernelI27subtract_right_partial_tileLj256ELj3ELb0EJPdPiS1_jEEvDpT3_
	.globl	_Z6kernelI27subtract_right_partial_tileLj256ELj3ELb0EJPdPiS1_jEEvDpT3_
	.p2align	8
	.type	_Z6kernelI27subtract_right_partial_tileLj256ELj3ELb0EJPdPiS1_jEEvDpT3_,@function
_Z6kernelI27subtract_right_partial_tileLj256ELj3ELb0EJPdPiS1_jEEvDpT3_: ; @_Z6kernelI27subtract_right_partial_tileLj256ELj3ELb0EJPdPiS1_jEEvDpT3_
; %bb.0:
	s_clause 0x1
	s_load_b128 s[4:7], s[0:1], 0x0
	s_load_b64 s[8:9], s[0:1], 0x10
	s_mov_b32 s13, 0
	s_mul_i32 s12, s15, 0x300
	v_lshlrev_b32_e32 v9, 3, v0
	s_lshl_b64 s[2:3], s[12:13], 3
	s_mov_b32 s10, s15
	v_mad_u32_u24 v10, v0, 3, 1
	v_mad_u32_u24 v11, v0, 3, 2
	;; [unrolled: 1-line block ×3, first 2 shown]
	v_or_b32_e32 v13, 0x800, v9
	s_waitcnt lgkmcnt(0)
	s_add_u32 s4, s4, s2
	s_addc_u32 s5, s5, s3
	v_add_co_u32 v1, s11, s4, v9
	s_delay_alu instid0(VALU_DEP_1) | instskip(SKIP_1) | instid1(VALU_DEP_2)
	v_add_co_ci_u32_e64 v2, null, s5, 0, s11
	s_mov_b32 s11, s13
	v_add_co_u32 v5, vcc_lo, 0x1000, v1
	s_delay_alu instid0(VALU_DEP_2)
	v_add_co_ci_u32_e32 v6, vcc_lo, 0, v2, vcc_lo
	s_clause 0x2
	global_load_b64 v[1:2], v9, s[4:5]
	global_load_b64 v[3:4], v9, s[4:5] offset:2048
	global_load_b64 v[5:6], v[5:6], off
	s_load_b32 s5, s[0:1], 0x18
	s_lshl_b64 s[0:1], s[10:11], 2
	s_delay_alu instid0(SALU_CYCLE_1)
	s_add_u32 s0, s6, s0
	s_addc_u32 s1, s7, s1
	s_load_b32 s1, s[0:1], 0x0
	s_waitcnt lgkmcnt(0)
	v_cvt_f32_u32_e32 v7, s5
	s_sub_i32 s6, 0, s5
	s_delay_alu instid0(VALU_DEP_1) | instskip(SKIP_2) | instid1(VALU_DEP_1)
	v_rcp_iflag_f32_e32 v7, v7
	s_waitcnt_depctr 0xfff
	v_mul_f32_e32 v7, 0x4f7ffffe, v7
	v_cvt_u32_f32_e32 v7, v7
	s_delay_alu instid0(VALU_DEP_1) | instskip(NEXT) | instid1(VALU_DEP_1)
	v_readfirstlane_b32 s4, v7
	s_mul_i32 s6, s6, s4
	s_delay_alu instid0(SALU_CYCLE_1) | instskip(NEXT) | instid1(SALU_CYCLE_1)
	s_mul_hi_u32 s6, s4, s6
	s_add_i32 s4, s4, s6
	s_delay_alu instid0(SALU_CYCLE_1) | instskip(NEXT) | instid1(SALU_CYCLE_1)
	s_mul_hi_u32 s4, s4, 0x300
	s_mul_i32 s6, s4, s5
	s_delay_alu instid0(SALU_CYCLE_1)
	s_sub_i32 s0, 0x300, s6
	s_add_i32 s6, s4, 1
	s_sub_i32 s7, s0, s5
	s_cmp_ge_u32 s0, s5
	s_cselect_b32 s4, s6, s4
	s_cselect_b32 s0, s7, s0
	s_add_i32 s6, s4, 1
	s_cmp_ge_u32 s0, s5
	s_cselect_b32 s4, s6, s4
	s_max_u32 s5, s5, 1
	s_add_i32 s4, s4, 1
	s_set_inst_prefetch_distance 0x1
	s_branch .LBB205_2
	.p2align	6
.LBB205_1:                              ;   in Loop: Header=BB205_2 Depth=1
	s_or_b32 exec_lo, exec_lo, s0
	v_add_f64 v[14:15], v[1:2], -v[3:4]
	v_add_f64 v[16:17], v[3:4], -v[5:6]
	v_cmp_gt_u32_e32 vcc_lo, s1, v10
	v_cmp_gt_u32_e64 s0, s1, v11
	v_add_f64 v[5:6], v[5:6], v[7:8]
	s_add_i32 s5, s5, -1
	s_barrier
	buffer_gl0_inv
	v_dual_cndmask_b32 v15, v2, v15 :: v_dual_cndmask_b32 v14, v1, v14
	v_cndmask_b32_e64 v17, v4, v17, s0
	v_cndmask_b32_e64 v16, v3, v16, s0
	s_add_i32 s0, s4, s1
	s_delay_alu instid0(VALU_DEP_3) | instskip(SKIP_1) | instid1(VALU_DEP_2)
	v_add_f64 v[1:2], v[1:2], v[14:15]
	s_mul_hi_u32 s1, s0, 0xaaaaaaab
	v_add_f64 v[3:4], v[3:4], v[16:17]
	s_lshr_b32 s1, s1, 9
	s_delay_alu instid0(SALU_CYCLE_1) | instskip(NEXT) | instid1(SALU_CYCLE_1)
	s_mulk_i32 s1, 0x300
	s_sub_i32 s1, s0, s1
	s_cmp_lg_u32 s5, 0
	s_cbranch_scc0 .LBB205_4
.LBB205_2:                              ; =>This Inner Loop Header: Depth=1
	s_waitcnt vmcnt(0)
	v_dual_mov_b32 v8, v6 :: v_dual_mov_b32 v7, v5
	s_mov_b32 s0, exec_lo
	ds_store_b64 v9, v[1:2] offset:2048
	s_waitcnt lgkmcnt(0)
	s_barrier
	buffer_gl0_inv
	v_cmpx_gt_u32_e64 s1, v12
	s_cbranch_execz .LBB205_1
; %bb.3:                                ;   in Loop: Header=BB205_2 Depth=1
	ds_load_b64 v[7:8], v13 offset:8
	s_waitcnt lgkmcnt(0)
	v_add_f64 v[7:8], v[5:6], -v[7:8]
	s_branch .LBB205_1
.LBB205_4:
	s_set_inst_prefetch_distance 0x2
	v_lshlrev_b32_e32 v0, 3, v0
	s_add_u32 s0, s8, s2
	s_addc_u32 s1, s9, s3
	s_delay_alu instid0(VALU_DEP_1) | instskip(NEXT) | instid1(VALU_DEP_1)
	v_add_co_u32 v7, s2, s0, v0
	v_add_co_ci_u32_e64 v8, null, s1, 0, s2
	s_delay_alu instid0(VALU_DEP_2) | instskip(NEXT) | instid1(VALU_DEP_2)
	v_add_co_u32 v7, vcc_lo, 0x1000, v7
	v_add_co_ci_u32_e32 v8, vcc_lo, 0, v8, vcc_lo
	s_clause 0x2
	global_store_b64 v0, v[1:2], s[0:1]
	global_store_b64 v0, v[3:4], s[0:1] offset:2048
	global_store_b64 v[7:8], v[5:6], off
	s_nop 0
	s_sendmsg sendmsg(MSG_DEALLOC_VGPRS)
	s_endpgm
	.section	.rodata,"a",@progbits
	.p2align	6, 0x0
	.amdhsa_kernel _Z6kernelI27subtract_right_partial_tileLj256ELj3ELb0EJPdPiS1_jEEvDpT3_
		.amdhsa_group_segment_fixed_size 4096
		.amdhsa_private_segment_fixed_size 0
		.amdhsa_kernarg_size 28
		.amdhsa_user_sgpr_count 15
		.amdhsa_user_sgpr_dispatch_ptr 0
		.amdhsa_user_sgpr_queue_ptr 0
		.amdhsa_user_sgpr_kernarg_segment_ptr 1
		.amdhsa_user_sgpr_dispatch_id 0
		.amdhsa_user_sgpr_private_segment_size 0
		.amdhsa_wavefront_size32 1
		.amdhsa_uses_dynamic_stack 0
		.amdhsa_enable_private_segment 0
		.amdhsa_system_sgpr_workgroup_id_x 1
		.amdhsa_system_sgpr_workgroup_id_y 0
		.amdhsa_system_sgpr_workgroup_id_z 0
		.amdhsa_system_sgpr_workgroup_info 0
		.amdhsa_system_vgpr_workitem_id 0
		.amdhsa_next_free_vgpr 18
		.amdhsa_next_free_sgpr 16
		.amdhsa_reserve_vcc 1
		.amdhsa_float_round_mode_32 0
		.amdhsa_float_round_mode_16_64 0
		.amdhsa_float_denorm_mode_32 3
		.amdhsa_float_denorm_mode_16_64 3
		.amdhsa_dx10_clamp 1
		.amdhsa_ieee_mode 1
		.amdhsa_fp16_overflow 0
		.amdhsa_workgroup_processor_mode 1
		.amdhsa_memory_ordered 1
		.amdhsa_forward_progress 0
		.amdhsa_shared_vgpr_count 0
		.amdhsa_exception_fp_ieee_invalid_op 0
		.amdhsa_exception_fp_denorm_src 0
		.amdhsa_exception_fp_ieee_div_zero 0
		.amdhsa_exception_fp_ieee_overflow 0
		.amdhsa_exception_fp_ieee_underflow 0
		.amdhsa_exception_fp_ieee_inexact 0
		.amdhsa_exception_int_div_zero 0
	.end_amdhsa_kernel
	.section	.text._Z6kernelI27subtract_right_partial_tileLj256ELj3ELb0EJPdPiS1_jEEvDpT3_,"axG",@progbits,_Z6kernelI27subtract_right_partial_tileLj256ELj3ELb0EJPdPiS1_jEEvDpT3_,comdat
.Lfunc_end205:
	.size	_Z6kernelI27subtract_right_partial_tileLj256ELj3ELb0EJPdPiS1_jEEvDpT3_, .Lfunc_end205-_Z6kernelI27subtract_right_partial_tileLj256ELj3ELb0EJPdPiS1_jEEvDpT3_
                                        ; -- End function
	.section	.AMDGPU.csdata,"",@progbits
; Kernel info:
; codeLenInByte = 636
; NumSgprs: 18
; NumVgprs: 18
; ScratchSize: 0
; MemoryBound: 0
; FloatMode: 240
; IeeeMode: 1
; LDSByteSize: 4096 bytes/workgroup (compile time only)
; SGPRBlocks: 2
; VGPRBlocks: 2
; NumSGPRsForWavesPerEU: 18
; NumVGPRsForWavesPerEU: 18
; Occupancy: 16
; WaveLimiterHint : 1
; COMPUTE_PGM_RSRC2:SCRATCH_EN: 0
; COMPUTE_PGM_RSRC2:USER_SGPR: 15
; COMPUTE_PGM_RSRC2:TRAP_HANDLER: 0
; COMPUTE_PGM_RSRC2:TGID_X_EN: 1
; COMPUTE_PGM_RSRC2:TGID_Y_EN: 0
; COMPUTE_PGM_RSRC2:TGID_Z_EN: 0
; COMPUTE_PGM_RSRC2:TIDIG_COMP_CNT: 0
	.section	.text._Z6kernelI27subtract_right_partial_tileLj256ELj4ELb0EJPdPiS1_jEEvDpT3_,"axG",@progbits,_Z6kernelI27subtract_right_partial_tileLj256ELj4ELb0EJPdPiS1_jEEvDpT3_,comdat
	.protected	_Z6kernelI27subtract_right_partial_tileLj256ELj4ELb0EJPdPiS1_jEEvDpT3_ ; -- Begin function _Z6kernelI27subtract_right_partial_tileLj256ELj4ELb0EJPdPiS1_jEEvDpT3_
	.globl	_Z6kernelI27subtract_right_partial_tileLj256ELj4ELb0EJPdPiS1_jEEvDpT3_
	.p2align	8
	.type	_Z6kernelI27subtract_right_partial_tileLj256ELj4ELb0EJPdPiS1_jEEvDpT3_,@function
_Z6kernelI27subtract_right_partial_tileLj256ELj4ELb0EJPdPiS1_jEEvDpT3_: ; @_Z6kernelI27subtract_right_partial_tileLj256ELj4ELb0EJPdPiS1_jEEvDpT3_
; %bb.0:
	s_clause 0x1
	s_load_b128 s[4:7], s[0:1], 0x0
	s_load_b64 s[8:9], s[0:1], 0x10
	s_mov_b32 s13, 0
	s_lshl_b32 s12, s15, 10
	v_lshlrev_b32_e32 v11, 3, v0
	s_lshl_b64 s[2:3], s[12:13], 3
	s_load_b32 s12, s[0:1], 0x18
	s_mov_b32 s10, s15
	s_delay_alu instid0(VALU_DEP_1) | instskip(SKIP_4) | instid1(VALU_DEP_1)
	v_or_b32_e32 v16, 0x800, v11
	s_waitcnt lgkmcnt(0)
	s_add_u32 s4, s4, s2
	s_addc_u32 s5, s5, s3
	v_add_co_u32 v1, s11, s4, v11
	v_add_co_ci_u32_e64 v2, null, s5, 0, s11
	v_cvt_f32_u32_e32 v9, s12
	s_delay_alu instid0(VALU_DEP_3) | instskip(NEXT) | instid1(VALU_DEP_3)
	v_add_co_u32 v7, vcc_lo, 0x1000, v1
	v_add_co_ci_u32_e32 v8, vcc_lo, 0, v2, vcc_lo
	s_delay_alu instid0(VALU_DEP_3)
	v_rcp_iflag_f32_e32 v9, v9
	s_clause 0x3
	global_load_b64 v[1:2], v11, s[4:5]
	global_load_b64 v[3:4], v11, s[4:5] offset:2048
	global_load_b64 v[5:6], v[7:8], off
	global_load_b64 v[7:8], v[7:8], off offset:2048
	s_mov_b32 s11, s13
	s_delay_alu instid0(SALU_CYCLE_1) | instskip(NEXT) | instid1(SALU_CYCLE_1)
	s_lshl_b64 s[0:1], s[10:11], 2
	s_add_u32 s0, s6, s0
	s_addc_u32 s1, s7, s1
	s_sub_i32 s5, 0, s12
	v_mul_f32_e32 v9, 0x4f7ffffe, v9
	s_delay_alu instid0(VALU_DEP_1) | instskip(NEXT) | instid1(VALU_DEP_1)
	v_cvt_u32_f32_e32 v9, v9
	v_readfirstlane_b32 s4, v9
	v_lshlrev_b32_e32 v9, 2, v0
	s_delay_alu instid0(VALU_DEP_2) | instskip(NEXT) | instid1(VALU_DEP_1)
	s_mul_i32 s5, s5, s4
	v_or_b32_e32 v12, 1, v9
	s_mul_hi_u32 s5, s4, s5
	v_or_b32_e32 v13, 2, v9
	s_add_i32 s4, s4, s5
	v_or_b32_e32 v14, 3, v9
	s_lshr_b32 s5, s4, 22
	s_load_b32 s4, s[0:1], 0x0
	s_mul_i32 s6, s5, s12
	s_add_i32 s1, s5, 1
	s_sub_i32 s0, 0x400, s6
	v_add_nc_u32_e32 v15, 4, v9
	s_sub_i32 s6, s0, s12
	s_cmp_ge_u32 s0, s12
	s_cselect_b32 s1, s1, s5
	s_cselect_b32 s0, s6, s0
	s_add_i32 s5, s1, 1
	s_cmp_ge_u32 s0, s12
	s_cselect_b32 s5, s5, s1
	s_max_u32 s6, s12, 1
	s_add_i32 s5, s5, 1
	s_branch .LBB206_2
.LBB206_1:                              ;   in Loop: Header=BB206_2 Depth=1
	s_or_b32 exec_lo, exec_lo, s0
	v_add_f64 v[17:18], v[1:2], -v[3:4]
	v_add_f64 v[19:20], v[3:4], -v[5:6]
	;; [unrolled: 1-line block ×3, first 2 shown]
	v_cmp_gt_u32_e32 vcc_lo, s4, v12
	v_cmp_gt_u32_e64 s0, s4, v13
	v_cmp_gt_u32_e64 s1, s4, v14
	v_add_f64 v[7:8], v[7:8], v[9:10]
	s_add_i32 s6, s6, -1
	s_barrier
	buffer_gl0_inv
	v_dual_cndmask_b32 v18, v2, v18 :: v_dual_cndmask_b32 v17, v1, v17
	v_cndmask_b32_e64 v20, v4, v20, s0
	v_cndmask_b32_e64 v19, v3, v19, s0
	;; [unrolled: 1-line block ×4, first 2 shown]
	v_add_f64 v[1:2], v[1:2], v[17:18]
	s_add_i32 s0, s5, s4
	v_add_f64 v[3:4], v[3:4], v[19:20]
	s_and_b32 s4, s0, 0x3ff
	v_add_f64 v[5:6], v[5:6], v[21:22]
	s_cmp_lg_u32 s6, 0
	s_cbranch_scc0 .LBB206_4
.LBB206_2:                              ; =>This Inner Loop Header: Depth=1
	s_waitcnt vmcnt(0)
	v_dual_mov_b32 v10, v8 :: v_dual_mov_b32 v9, v7
	s_mov_b32 s0, exec_lo
	ds_store_b64 v11, v[1:2] offset:2048
	s_waitcnt lgkmcnt(0)
	s_barrier
	buffer_gl0_inv
	v_cmpx_gt_u32_e64 s4, v15
	s_cbranch_execz .LBB206_1
; %bb.3:                                ;   in Loop: Header=BB206_2 Depth=1
	ds_load_b64 v[9:10], v16 offset:8
	s_waitcnt lgkmcnt(0)
	v_add_f64 v[9:10], v[7:8], -v[9:10]
	s_branch .LBB206_1
.LBB206_4:
	v_lshlrev_b32_e32 v0, 3, v0
	s_add_u32 s0, s8, s2
	s_addc_u32 s1, s9, s3
	s_delay_alu instid0(VALU_DEP_1) | instskip(NEXT) | instid1(VALU_DEP_1)
	v_add_co_u32 v9, s2, s0, v0
	v_add_co_ci_u32_e64 v10, null, s1, 0, s2
	s_delay_alu instid0(VALU_DEP_2) | instskip(NEXT) | instid1(VALU_DEP_2)
	v_add_co_u32 v9, vcc_lo, 0x1000, v9
	v_add_co_ci_u32_e32 v10, vcc_lo, 0, v10, vcc_lo
	s_clause 0x3
	global_store_b64 v0, v[1:2], s[0:1]
	global_store_b64 v0, v[3:4], s[0:1] offset:2048
	global_store_b64 v[9:10], v[5:6], off
	global_store_b64 v[9:10], v[7:8], off offset:2048
	s_nop 0
	s_sendmsg sendmsg(MSG_DEALLOC_VGPRS)
	s_endpgm
	.section	.rodata,"a",@progbits
	.p2align	6, 0x0
	.amdhsa_kernel _Z6kernelI27subtract_right_partial_tileLj256ELj4ELb0EJPdPiS1_jEEvDpT3_
		.amdhsa_group_segment_fixed_size 4096
		.amdhsa_private_segment_fixed_size 0
		.amdhsa_kernarg_size 28
		.amdhsa_user_sgpr_count 15
		.amdhsa_user_sgpr_dispatch_ptr 0
		.amdhsa_user_sgpr_queue_ptr 0
		.amdhsa_user_sgpr_kernarg_segment_ptr 1
		.amdhsa_user_sgpr_dispatch_id 0
		.amdhsa_user_sgpr_private_segment_size 0
		.amdhsa_wavefront_size32 1
		.amdhsa_uses_dynamic_stack 0
		.amdhsa_enable_private_segment 0
		.amdhsa_system_sgpr_workgroup_id_x 1
		.amdhsa_system_sgpr_workgroup_id_y 0
		.amdhsa_system_sgpr_workgroup_id_z 0
		.amdhsa_system_sgpr_workgroup_info 0
		.amdhsa_system_vgpr_workitem_id 0
		.amdhsa_next_free_vgpr 23
		.amdhsa_next_free_sgpr 16
		.amdhsa_reserve_vcc 1
		.amdhsa_float_round_mode_32 0
		.amdhsa_float_round_mode_16_64 0
		.amdhsa_float_denorm_mode_32 3
		.amdhsa_float_denorm_mode_16_64 3
		.amdhsa_dx10_clamp 1
		.amdhsa_ieee_mode 1
		.amdhsa_fp16_overflow 0
		.amdhsa_workgroup_processor_mode 1
		.amdhsa_memory_ordered 1
		.amdhsa_forward_progress 0
		.amdhsa_shared_vgpr_count 0
		.amdhsa_exception_fp_ieee_invalid_op 0
		.amdhsa_exception_fp_denorm_src 0
		.amdhsa_exception_fp_ieee_div_zero 0
		.amdhsa_exception_fp_ieee_overflow 0
		.amdhsa_exception_fp_ieee_underflow 0
		.amdhsa_exception_fp_ieee_inexact 0
		.amdhsa_exception_int_div_zero 0
	.end_amdhsa_kernel
	.section	.text._Z6kernelI27subtract_right_partial_tileLj256ELj4ELb0EJPdPiS1_jEEvDpT3_,"axG",@progbits,_Z6kernelI27subtract_right_partial_tileLj256ELj4ELb0EJPdPiS1_jEEvDpT3_,comdat
.Lfunc_end206:
	.size	_Z6kernelI27subtract_right_partial_tileLj256ELj4ELb0EJPdPiS1_jEEvDpT3_, .Lfunc_end206-_Z6kernelI27subtract_right_partial_tileLj256ELj4ELb0EJPdPiS1_jEEvDpT3_
                                        ; -- End function
	.section	.AMDGPU.csdata,"",@progbits
; Kernel info:
; codeLenInByte = 636
; NumSgprs: 18
; NumVgprs: 23
; ScratchSize: 0
; MemoryBound: 0
; FloatMode: 240
; IeeeMode: 1
; LDSByteSize: 4096 bytes/workgroup (compile time only)
; SGPRBlocks: 2
; VGPRBlocks: 2
; NumSGPRsForWavesPerEU: 18
; NumVGPRsForWavesPerEU: 23
; Occupancy: 16
; WaveLimiterHint : 1
; COMPUTE_PGM_RSRC2:SCRATCH_EN: 0
; COMPUTE_PGM_RSRC2:USER_SGPR: 15
; COMPUTE_PGM_RSRC2:TRAP_HANDLER: 0
; COMPUTE_PGM_RSRC2:TGID_X_EN: 1
; COMPUTE_PGM_RSRC2:TGID_Y_EN: 0
; COMPUTE_PGM_RSRC2:TGID_Z_EN: 0
; COMPUTE_PGM_RSRC2:TIDIG_COMP_CNT: 0
	.section	.text._Z6kernelI27subtract_right_partial_tileLj256ELj8ELb0EJPdPiS1_jEEvDpT3_,"axG",@progbits,_Z6kernelI27subtract_right_partial_tileLj256ELj8ELb0EJPdPiS1_jEEvDpT3_,comdat
	.protected	_Z6kernelI27subtract_right_partial_tileLj256ELj8ELb0EJPdPiS1_jEEvDpT3_ ; -- Begin function _Z6kernelI27subtract_right_partial_tileLj256ELj8ELb0EJPdPiS1_jEEvDpT3_
	.globl	_Z6kernelI27subtract_right_partial_tileLj256ELj8ELb0EJPdPiS1_jEEvDpT3_
	.p2align	8
	.type	_Z6kernelI27subtract_right_partial_tileLj256ELj8ELb0EJPdPiS1_jEEvDpT3_,@function
_Z6kernelI27subtract_right_partial_tileLj256ELj8ELb0EJPdPiS1_jEEvDpT3_: ; @_Z6kernelI27subtract_right_partial_tileLj256ELj8ELb0EJPdPiS1_jEEvDpT3_
; %bb.0:
	s_clause 0x1
	s_load_b128 s[4:7], s[0:1], 0x0
	s_load_b64 s[10:11], s[0:1], 0x10
	s_mov_b32 s13, 0
	s_lshl_b32 s12, s15, 11
	v_lshlrev_b32_e32 v19, 3, v0
	s_lshl_b64 s[8:9], s[12:13], 3
	s_mov_b32 s2, s15
	s_delay_alu instid0(VALU_DEP_1)
	v_or_b32_e32 v20, 1, v19
	v_or_b32_e32 v21, 2, v19
	;; [unrolled: 1-line block ×7, first 2 shown]
	v_add_nc_u32_e32 v27, 8, v19
	v_or_b32_e32 v28, 0x800, v19
	s_waitcnt lgkmcnt(0)
	s_add_u32 s4, s4, s8
	s_addc_u32 s5, s5, s9
	v_add_co_u32 v5, s3, s4, v19
	s_delay_alu instid0(VALU_DEP_1)
	v_add_co_ci_u32_e64 v6, null, s5, 0, s3
	s_clause 0x1
	global_load_b64 v[3:4], v19, s[4:5]
	global_load_b64 v[1:2], v19, s[4:5] offset:2048
	v_add_co_u32 v7, vcc_lo, 0x1000, v5
	v_add_co_ci_u32_e32 v8, vcc_lo, 0, v6, vcc_lo
	v_add_co_u32 v9, vcc_lo, v5, 0x2000
	v_add_co_ci_u32_e32 v10, vcc_lo, 0, v6, vcc_lo
	;; [unrolled: 2-line block ×4, first 2 shown]
	s_clause 0x5
	global_load_b64 v[5:6], v[9:10], off offset:-4096
	global_load_b64 v[15:16], v[9:10], off
	global_load_b64 v[13:14], v[7:8], off offset:2048
	global_load_b64 v[11:12], v[11:12], off offset:2048
	global_load_b64 v[9:10], v[17:18], off
	global_load_b64 v[7:8], v[17:18], off offset:2048
	s_load_b32 s4, s[0:1], 0x18
	s_mov_b32 s3, s13
	s_delay_alu instid0(SALU_CYCLE_1) | instskip(NEXT) | instid1(SALU_CYCLE_1)
	s_lshl_b64 s[0:1], s[2:3], 2
	s_add_u32 s0, s6, s0
	s_addc_u32 s1, s7, s1
	s_load_b32 s6, s[0:1], 0x0
	s_waitcnt lgkmcnt(0)
	v_cvt_f32_u32_e32 v17, s4
	s_sub_i32 s3, 0, s4
	s_delay_alu instid0(VALU_DEP_1) | instskip(SKIP_2) | instid1(VALU_DEP_1)
	v_rcp_iflag_f32_e32 v17, v17
	s_waitcnt_depctr 0xfff
	v_mul_f32_e32 v17, 0x4f7ffffe, v17
	v_cvt_u32_f32_e32 v17, v17
	s_delay_alu instid0(VALU_DEP_1) | instskip(NEXT) | instid1(VALU_DEP_1)
	v_readfirstlane_b32 s2, v17
	s_mul_i32 s3, s3, s2
	s_delay_alu instid0(SALU_CYCLE_1) | instskip(NEXT) | instid1(SALU_CYCLE_1)
	s_mul_hi_u32 s3, s2, s3
	s_add_i32 s2, s2, s3
	s_delay_alu instid0(SALU_CYCLE_1) | instskip(NEXT) | instid1(SALU_CYCLE_1)
	s_lshr_b32 s2, s2, 21
	s_mul_i32 s3, s2, s4
	s_add_i32 s5, s2, 1
	s_sub_i32 s3, 0x800, s3
	s_delay_alu instid0(SALU_CYCLE_1)
	s_sub_i32 s7, s3, s4
	s_cmp_ge_u32 s3, s4
	s_cselect_b32 s0, s5, s2
	s_cselect_b32 s1, s7, s3
	s_add_i32 s2, s0, 1
	s_cmp_ge_u32 s1, s4
	s_cselect_b32 s7, s2, s0
	s_max_u32 s12, s4, 1
	s_add_i32 s7, s7, 1
	s_branch .LBB207_2
.LBB207_1:                              ;   in Loop: Header=BB207_2 Depth=1
	s_or_b32 exec_lo, exec_lo, s0
	v_add_f64 v[29:30], v[3:4], -v[1:2]
	v_add_f64 v[31:32], v[1:2], -v[5:6]
	;; [unrolled: 1-line block ×7, first 2 shown]
	v_cmp_gt_u32_e32 vcc_lo, s6, v21
	v_cmp_gt_u32_e64 s0, s6, v22
	v_cmp_gt_u32_e64 s1, s6, v23
	;; [unrolled: 1-line block ×6, first 2 shown]
	v_add_f64 v[7:8], v[7:8], v[17:18]
	s_add_i32 s12, s12, -1
	s_barrier
	buffer_gl0_inv
	v_cndmask_b32_e64 v30, v4, v30, s2
	v_cndmask_b32_e64 v29, v3, v29, s2
	v_dual_cndmask_b32 v32, v2, v32 :: v_dual_cndmask_b32 v31, v1, v31
	v_cndmask_b32_e64 v34, v6, v34, s0
	v_cndmask_b32_e64 v33, v5, v33, s0
	;; [unrolled: 1-line block ×10, first 2 shown]
	v_add_f64 v[3:4], v[3:4], v[29:30]
	v_add_f64 v[1:2], v[1:2], v[31:32]
	;; [unrolled: 1-line block ×7, first 2 shown]
	s_add_i32 s0, s7, s6
	s_delay_alu instid0(SALU_CYCLE_1)
	s_and_b32 s6, s0, 0x7ff
	s_cmp_lg_u32 s12, 0
	s_cbranch_scc0 .LBB207_4
.LBB207_2:                              ; =>This Inner Loop Header: Depth=1
	s_waitcnt vmcnt(0)
	v_dual_mov_b32 v18, v8 :: v_dual_mov_b32 v17, v7
	s_mov_b32 s0, exec_lo
	ds_store_b64 v19, v[3:4] offset:2048
	s_waitcnt lgkmcnt(0)
	s_barrier
	buffer_gl0_inv
	v_cmpx_gt_u32_e64 s6, v27
	s_cbranch_execz .LBB207_1
; %bb.3:                                ;   in Loop: Header=BB207_2 Depth=1
	ds_load_b64 v[17:18], v28 offset:8
	s_waitcnt lgkmcnt(0)
	v_add_f64 v[17:18], v[7:8], -v[17:18]
	s_branch .LBB207_1
.LBB207_4:
	v_lshlrev_b32_e32 v0, 3, v0
	s_add_u32 s0, s10, s8
	s_addc_u32 s1, s11, s9
	s_delay_alu instid0(VALU_DEP_1) | instskip(NEXT) | instid1(VALU_DEP_1)
	v_add_co_u32 v23, s2, s0, v0
	v_add_co_ci_u32_e64 v24, null, s1, 0, s2
	s_delay_alu instid0(VALU_DEP_2) | instskip(NEXT) | instid1(VALU_DEP_2)
	v_add_co_u32 v17, vcc_lo, 0x1000, v23
	v_add_co_ci_u32_e32 v18, vcc_lo, 0, v24, vcc_lo
	v_add_co_u32 v19, vcc_lo, v23, 0x2000
	v_add_co_ci_u32_e32 v20, vcc_lo, 0, v24, vcc_lo
	;; [unrolled: 2-line block ×3, first 2 shown]
	global_store_b64 v[19:20], v[15:16], off
	v_add_co_u32 v15, vcc_lo, 0x3000, v23
	v_add_co_ci_u32_e32 v16, vcc_lo, 0, v24, vcc_lo
	s_clause 0x6
	global_store_b64 v0, v[3:4], s[0:1]
	global_store_b64 v0, v[1:2], s[0:1] offset:2048
	global_store_b64 v[17:18], v[13:14], off offset:2048
	global_store_b64 v[21:22], v[11:12], off offset:2048
	global_store_b64 v[15:16], v[9:10], off
	global_store_b64 v[19:20], v[5:6], off offset:-4096
	global_store_b64 v[15:16], v[7:8], off offset:2048
	s_nop 0
	s_sendmsg sendmsg(MSG_DEALLOC_VGPRS)
	s_endpgm
	.section	.rodata,"a",@progbits
	.p2align	6, 0x0
	.amdhsa_kernel _Z6kernelI27subtract_right_partial_tileLj256ELj8ELb0EJPdPiS1_jEEvDpT3_
		.amdhsa_group_segment_fixed_size 4096
		.amdhsa_private_segment_fixed_size 0
		.amdhsa_kernarg_size 28
		.amdhsa_user_sgpr_count 15
		.amdhsa_user_sgpr_dispatch_ptr 0
		.amdhsa_user_sgpr_queue_ptr 0
		.amdhsa_user_sgpr_kernarg_segment_ptr 1
		.amdhsa_user_sgpr_dispatch_id 0
		.amdhsa_user_sgpr_private_segment_size 0
		.amdhsa_wavefront_size32 1
		.amdhsa_uses_dynamic_stack 0
		.amdhsa_enable_private_segment 0
		.amdhsa_system_sgpr_workgroup_id_x 1
		.amdhsa_system_sgpr_workgroup_id_y 0
		.amdhsa_system_sgpr_workgroup_id_z 0
		.amdhsa_system_sgpr_workgroup_info 0
		.amdhsa_system_vgpr_workitem_id 0
		.amdhsa_next_free_vgpr 43
		.amdhsa_next_free_sgpr 16
		.amdhsa_reserve_vcc 1
		.amdhsa_float_round_mode_32 0
		.amdhsa_float_round_mode_16_64 0
		.amdhsa_float_denorm_mode_32 3
		.amdhsa_float_denorm_mode_16_64 3
		.amdhsa_dx10_clamp 1
		.amdhsa_ieee_mode 1
		.amdhsa_fp16_overflow 0
		.amdhsa_workgroup_processor_mode 1
		.amdhsa_memory_ordered 1
		.amdhsa_forward_progress 0
		.amdhsa_shared_vgpr_count 0
		.amdhsa_exception_fp_ieee_invalid_op 0
		.amdhsa_exception_fp_denorm_src 0
		.amdhsa_exception_fp_ieee_div_zero 0
		.amdhsa_exception_fp_ieee_overflow 0
		.amdhsa_exception_fp_ieee_underflow 0
		.amdhsa_exception_fp_ieee_inexact 0
		.amdhsa_exception_int_div_zero 0
	.end_amdhsa_kernel
	.section	.text._Z6kernelI27subtract_right_partial_tileLj256ELj8ELb0EJPdPiS1_jEEvDpT3_,"axG",@progbits,_Z6kernelI27subtract_right_partial_tileLj256ELj8ELb0EJPdPiS1_jEEvDpT3_,comdat
.Lfunc_end207:
	.size	_Z6kernelI27subtract_right_partial_tileLj256ELj8ELb0EJPdPiS1_jEEvDpT3_, .Lfunc_end207-_Z6kernelI27subtract_right_partial_tileLj256ELj8ELb0EJPdPiS1_jEEvDpT3_
                                        ; -- End function
	.section	.AMDGPU.csdata,"",@progbits
; Kernel info:
; codeLenInByte = 992
; NumSgprs: 18
; NumVgprs: 43
; ScratchSize: 0
; MemoryBound: 0
; FloatMode: 240
; IeeeMode: 1
; LDSByteSize: 4096 bytes/workgroup (compile time only)
; SGPRBlocks: 2
; VGPRBlocks: 5
; NumSGPRsForWavesPerEU: 18
; NumVGPRsForWavesPerEU: 43
; Occupancy: 16
; WaveLimiterHint : 1
; COMPUTE_PGM_RSRC2:SCRATCH_EN: 0
; COMPUTE_PGM_RSRC2:USER_SGPR: 15
; COMPUTE_PGM_RSRC2:TRAP_HANDLER: 0
; COMPUTE_PGM_RSRC2:TGID_X_EN: 1
; COMPUTE_PGM_RSRC2:TGID_Y_EN: 0
; COMPUTE_PGM_RSRC2:TGID_Z_EN: 0
; COMPUTE_PGM_RSRC2:TIDIG_COMP_CNT: 0
	.section	.text._Z6kernelI27subtract_right_partial_tileLj256ELj16ELb0EJPdPiS1_jEEvDpT3_,"axG",@progbits,_Z6kernelI27subtract_right_partial_tileLj256ELj16ELb0EJPdPiS1_jEEvDpT3_,comdat
	.protected	_Z6kernelI27subtract_right_partial_tileLj256ELj16ELb0EJPdPiS1_jEEvDpT3_ ; -- Begin function _Z6kernelI27subtract_right_partial_tileLj256ELj16ELb0EJPdPiS1_jEEvDpT3_
	.globl	_Z6kernelI27subtract_right_partial_tileLj256ELj16ELb0EJPdPiS1_jEEvDpT3_
	.p2align	8
	.type	_Z6kernelI27subtract_right_partial_tileLj256ELj16ELb0EJPdPiS1_jEEvDpT3_,@function
_Z6kernelI27subtract_right_partial_tileLj256ELj16ELb0EJPdPiS1_jEEvDpT3_: ; @_Z6kernelI27subtract_right_partial_tileLj256ELj16ELb0EJPdPiS1_jEEvDpT3_
; %bb.0:
	s_clause 0x1
	s_load_b128 s[4:7], s[0:1], 0x0
	s_load_b64 s[10:11], s[0:1], 0x10
	s_mov_b32 s13, 0
	s_lshl_b32 s12, s15, 12
	v_lshlrev_b32_e32 v35, 3, v0
	s_lshl_b64 s[8:9], s[12:13], 3
	s_mov_b32 s2, s15
	s_delay_alu instid0(VALU_DEP_1) | instskip(SKIP_4) | instid1(VALU_DEP_1)
	v_or_b32_e32 v52, 0x800, v35
	s_waitcnt lgkmcnt(0)
	s_add_u32 s4, s4, s8
	s_addc_u32 s5, s5, s9
	v_add_co_u32 v21, s3, s4, v35
	v_add_co_ci_u32_e64 v22, null, s5, 0, s3
	s_clause 0x1
	global_load_b64 v[11:12], v35, s[4:5]
	global_load_b64 v[9:10], v35, s[4:5] offset:2048
	v_add_co_u32 v3, vcc_lo, 0x1000, v21
	v_add_co_ci_u32_e32 v4, vcc_lo, 0, v22, vcc_lo
	v_add_co_u32 v5, vcc_lo, v21, 0x2000
	v_add_co_ci_u32_e32 v6, vcc_lo, 0, v22, vcc_lo
	;; [unrolled: 2-line block ×6, first 2 shown]
	s_clause 0x7
	global_load_b64 v[1:2], v[5:6], off offset:-4096
	global_load_b64 v[27:28], v[5:6], off
	global_load_b64 v[7:8], v[13:14], off offset:-4096
	global_load_b64 v[13:14], v[13:14], off
	global_load_b64 v[31:32], v[3:4], off offset:2048
	global_load_b64 v[29:30], v[15:16], off offset:2048
	;; [unrolled: 1-line block ×4, first 2 shown]
	v_add_co_u32 v15, vcc_lo, 0x5000, v21
	v_add_co_ci_u32_e32 v16, vcc_lo, 0, v22, vcc_lo
	v_add_co_u32 v17, vcc_lo, v21, 0x6000
	v_add_co_ci_u32_e32 v18, vcc_lo, 0, v22, vcc_lo
	;; [unrolled: 2-line block ×4, first 2 shown]
	s_clause 0x5
	global_load_b64 v[25:26], v[17:18], off offset:-4096
	global_load_b64 v[23:24], v[17:18], off
	global_load_b64 v[21:22], v[15:16], off offset:2048
	global_load_b64 v[19:20], v[19:20], off offset:2048
	global_load_b64 v[17:18], v[33:34], off
	global_load_b64 v[15:16], v[33:34], off offset:2048
	s_load_b32 s4, s[0:1], 0x18
	s_mov_b32 s3, s13
	s_delay_alu instid0(SALU_CYCLE_1) | instskip(NEXT) | instid1(SALU_CYCLE_1)
	s_lshl_b64 s[0:1], s[2:3], 2
	s_add_u32 s0, s6, s0
	s_addc_u32 s1, s7, s1
	s_load_b32 s12, s[0:1], 0x0
	s_waitcnt lgkmcnt(0)
	v_cvt_f32_u32_e32 v33, s4
	s_sub_i32 s3, 0, s4
	s_delay_alu instid0(VALU_DEP_1) | instskip(SKIP_2) | instid1(VALU_DEP_1)
	v_rcp_iflag_f32_e32 v33, v33
	s_waitcnt_depctr 0xfff
	v_mul_f32_e32 v33, 0x4f7ffffe, v33
	v_cvt_u32_f32_e32 v33, v33
	s_delay_alu instid0(VALU_DEP_1) | instskip(SKIP_1) | instid1(VALU_DEP_2)
	v_readfirstlane_b32 s2, v33
	v_lshlrev_b32_e32 v33, 4, v0
	s_mul_i32 s3, s3, s2
	s_delay_alu instid0(VALU_DEP_1)
	v_or_b32_e32 v36, 1, v33
	s_mul_hi_u32 s3, s2, s3
	v_or_b32_e32 v37, 2, v33
	s_add_i32 s2, s2, s3
	v_or_b32_e32 v38, 3, v33
	s_lshr_b32 s2, s2, 20
	v_or_b32_e32 v39, 4, v33
	s_mul_i32 s3, s2, s4
	s_add_i32 s5, s2, 1
	s_sub_i32 s3, 0x1000, s3
	v_or_b32_e32 v40, 5, v33
	s_sub_i32 s6, s3, s4
	s_cmp_ge_u32 s3, s4
	v_or_b32_e32 v41, 6, v33
	s_cselect_b32 s2, s5, s2
	s_cselect_b32 s3, s6, s3
	s_add_i32 s5, s2, 1
	s_cmp_ge_u32 s3, s4
	v_or_b32_e32 v42, 7, v33
	v_or_b32_e32 v43, 8, v33
	;; [unrolled: 1-line block ×9, first 2 shown]
	v_add_nc_u32_e32 v51, 16, v33
	s_cselect_b32 s13, s5, s2
	s_max_u32 s14, s4, 1
	s_add_i32 s13, s13, 1
	s_branch .LBB208_2
.LBB208_1:                              ;   in Loop: Header=BB208_2 Depth=1
	s_or_b32 exec_lo, exec_lo, s0
	v_add_f64 v[55:56], v[9:10], -v[1:2]
	v_add_f64 v[57:58], v[1:2], -v[31:32]
	;; [unrolled: 1-line block ×15, first 2 shown]
	v_cmp_gt_u32_e32 vcc_lo, s12, v37
	v_cmp_gt_u32_e64 s0, s12, v38
	v_cmp_gt_u32_e64 s1, s12, v39
	v_cmp_gt_u32_e64 s2, s12, v40
	v_cmp_gt_u32_e64 s3, s12, v41
	v_cmp_gt_u32_e64 s4, s12, v36
	v_cmp_gt_u32_e64 s5, s12, v42
	v_cmp_gt_u32_e64 s6, s12, v43
	v_cmp_gt_u32_e64 s7, s12, v44
	v_add_f64 v[15:16], v[15:16], v[33:34]
	s_add_i32 s14, s14, -1
	s_barrier
	buffer_gl0_inv
	v_dual_cndmask_b32 v56, v10, v56 :: v_dual_cndmask_b32 v55, v9, v55
	v_cmp_gt_u32_e32 vcc_lo, s12, v45
	v_cndmask_b32_e64 v58, v2, v58, s0
	v_cndmask_b32_e64 v57, v1, v57, s0
	v_cmp_gt_u32_e64 s0, s12, v46
	v_cndmask_b32_e64 v60, v32, v60, s1
	v_dual_cndmask_b32 v72, v4, v72 :: v_dual_cndmask_b32 v71, v3, v71
	v_cmp_gt_u32_e32 vcc_lo, s12, v47
	v_cndmask_b32_e64 v59, v31, v59, s1
	v_cndmask_b32_e64 v74, v26, v74, s0
	;; [unrolled: 1-line block ×3, first 2 shown]
	v_cmp_gt_u32_e64 s0, s12, v48
	v_dual_cndmask_b32 v76, v22, v76 :: v_dual_cndmask_b32 v75, v21, v75
	v_cmp_gt_u32_e32 vcc_lo, s12, v49
	v_cmp_gt_u32_e64 s1, s12, v50
	v_cndmask_b32_e64 v54, v12, v54, s4
	v_cndmask_b32_e64 v53, v11, v53, s4
	;; [unrolled: 1-line block ×14, first 2 shown]
	v_dual_cndmask_b32 v80, v20, v80 :: v_dual_cndmask_b32 v79, v19, v79
	v_cndmask_b32_e64 v82, v18, v82, s1
	v_cndmask_b32_e64 v81, v17, v81, s1
	v_add_f64 v[11:12], v[11:12], v[53:54]
	v_add_f64 v[9:10], v[9:10], v[55:56]
	;; [unrolled: 1-line block ×15, first 2 shown]
	s_add_i32 s0, s13, s12
	s_delay_alu instid0(SALU_CYCLE_1)
	s_and_b32 s12, s0, 0xfff
	s_cmp_lg_u32 s14, 0
	s_cbranch_scc0 .LBB208_4
.LBB208_2:                              ; =>This Inner Loop Header: Depth=1
	s_waitcnt vmcnt(0)
	v_dual_mov_b32 v34, v16 :: v_dual_mov_b32 v33, v15
	s_mov_b32 s0, exec_lo
	ds_store_b64 v35, v[11:12] offset:2048
	s_waitcnt lgkmcnt(0)
	s_barrier
	buffer_gl0_inv
	v_cmpx_gt_u32_e64 s12, v51
	s_cbranch_execz .LBB208_1
; %bb.3:                                ;   in Loop: Header=BB208_2 Depth=1
	ds_load_b64 v[33:34], v52 offset:8
	s_waitcnt lgkmcnt(0)
	v_add_f64 v[33:34], v[15:16], -v[33:34]
	s_branch .LBB208_1
.LBB208_4:
	v_lshlrev_b32_e32 v0, 3, v0
	s_add_u32 s0, s10, s8
	s_addc_u32 s1, s11, s9
	s_delay_alu instid0(VALU_DEP_1) | instskip(NEXT) | instid1(VALU_DEP_1)
	v_add_co_u32 v39, s2, s0, v0
	v_add_co_ci_u32_e64 v40, null, s1, 0, s2
	s_delay_alu instid0(VALU_DEP_2) | instskip(NEXT) | instid1(VALU_DEP_2)
	v_add_co_u32 v33, vcc_lo, 0x1000, v39
	v_add_co_ci_u32_e32 v34, vcc_lo, 0, v40, vcc_lo
	v_add_co_u32 v35, vcc_lo, v39, 0x2000
	v_add_co_ci_u32_e32 v36, vcc_lo, 0, v40, vcc_lo
	;; [unrolled: 2-line block ×3, first 2 shown]
	s_clause 0x4
	global_store_b64 v[35:36], v[27:28], off
	global_store_b64 v0, v[11:12], s[0:1]
	global_store_b64 v0, v[9:10], s[0:1] offset:2048
	global_store_b64 v[33:34], v[31:32], off offset:2048
	global_store_b64 v[37:38], v[29:30], off offset:2048
	v_add_co_u32 v9, vcc_lo, 0x3000, v39
	v_add_co_ci_u32_e32 v10, vcc_lo, 0, v40, vcc_lo
	v_add_co_u32 v11, vcc_lo, v39, 0x4000
	v_add_co_ci_u32_e32 v12, vcc_lo, 0, v40, vcc_lo
	v_add_co_u32 v27, vcc_lo, 0x4000, v39
	v_add_co_ci_u32_e32 v28, vcc_lo, 0, v40, vcc_lo
	v_add_co_u32 v29, vcc_lo, 0x5000, v39
	v_add_co_ci_u32_e32 v30, vcc_lo, 0, v40, vcc_lo
	v_add_co_u32 v31, vcc_lo, v39, 0x6000
	v_add_co_ci_u32_e32 v32, vcc_lo, 0, v40, vcc_lo
	v_add_co_u32 v33, vcc_lo, 0x6000, v39
	v_add_co_ci_u32_e32 v34, vcc_lo, 0, v40, vcc_lo
	s_clause 0x3
	global_store_b64 v[11:12], v[7:8], off offset:-4096
	global_store_b64 v[11:12], v[13:14], off
	global_store_b64 v[31:32], v[25:26], off offset:-4096
	global_store_b64 v[31:32], v[23:24], off
	v_add_co_u32 v7, vcc_lo, 0x7000, v39
	v_add_co_ci_u32_e32 v8, vcc_lo, 0, v40, vcc_lo
	s_clause 0x6
	global_store_b64 v[9:10], v[5:6], off offset:2048
	global_store_b64 v[27:28], v[3:4], off offset:2048
	global_store_b64 v[29:30], v[21:22], off offset:2048
	global_store_b64 v[33:34], v[19:20], off offset:2048
	global_store_b64 v[7:8], v[17:18], off
	global_store_b64 v[35:36], v[1:2], off offset:-4096
	global_store_b64 v[7:8], v[15:16], off offset:2048
	s_nop 0
	s_sendmsg sendmsg(MSG_DEALLOC_VGPRS)
	s_endpgm
	.section	.rodata,"a",@progbits
	.p2align	6, 0x0
	.amdhsa_kernel _Z6kernelI27subtract_right_partial_tileLj256ELj16ELb0EJPdPiS1_jEEvDpT3_
		.amdhsa_group_segment_fixed_size 4096
		.amdhsa_private_segment_fixed_size 0
		.amdhsa_kernarg_size 28
		.amdhsa_user_sgpr_count 15
		.amdhsa_user_sgpr_dispatch_ptr 0
		.amdhsa_user_sgpr_queue_ptr 0
		.amdhsa_user_sgpr_kernarg_segment_ptr 1
		.amdhsa_user_sgpr_dispatch_id 0
		.amdhsa_user_sgpr_private_segment_size 0
		.amdhsa_wavefront_size32 1
		.amdhsa_uses_dynamic_stack 0
		.amdhsa_enable_private_segment 0
		.amdhsa_system_sgpr_workgroup_id_x 1
		.amdhsa_system_sgpr_workgroup_id_y 0
		.amdhsa_system_sgpr_workgroup_id_z 0
		.amdhsa_system_sgpr_workgroup_info 0
		.amdhsa_system_vgpr_workitem_id 0
		.amdhsa_next_free_vgpr 83
		.amdhsa_next_free_sgpr 16
		.amdhsa_reserve_vcc 1
		.amdhsa_float_round_mode_32 0
		.amdhsa_float_round_mode_16_64 0
		.amdhsa_float_denorm_mode_32 3
		.amdhsa_float_denorm_mode_16_64 3
		.amdhsa_dx10_clamp 1
		.amdhsa_ieee_mode 1
		.amdhsa_fp16_overflow 0
		.amdhsa_workgroup_processor_mode 1
		.amdhsa_memory_ordered 1
		.amdhsa_forward_progress 0
		.amdhsa_shared_vgpr_count 0
		.amdhsa_exception_fp_ieee_invalid_op 0
		.amdhsa_exception_fp_denorm_src 0
		.amdhsa_exception_fp_ieee_div_zero 0
		.amdhsa_exception_fp_ieee_overflow 0
		.amdhsa_exception_fp_ieee_underflow 0
		.amdhsa_exception_fp_ieee_inexact 0
		.amdhsa_exception_int_div_zero 0
	.end_amdhsa_kernel
	.section	.text._Z6kernelI27subtract_right_partial_tileLj256ELj16ELb0EJPdPiS1_jEEvDpT3_,"axG",@progbits,_Z6kernelI27subtract_right_partial_tileLj256ELj16ELb0EJPdPiS1_jEEvDpT3_,comdat
.Lfunc_end208:
	.size	_Z6kernelI27subtract_right_partial_tileLj256ELj16ELb0EJPdPiS1_jEEvDpT3_, .Lfunc_end208-_Z6kernelI27subtract_right_partial_tileLj256ELj16ELb0EJPdPiS1_jEEvDpT3_
                                        ; -- End function
	.section	.AMDGPU.csdata,"",@progbits
; Kernel info:
; codeLenInByte = 1632
; NumSgprs: 18
; NumVgprs: 83
; ScratchSize: 0
; MemoryBound: 0
; FloatMode: 240
; IeeeMode: 1
; LDSByteSize: 4096 bytes/workgroup (compile time only)
; SGPRBlocks: 2
; VGPRBlocks: 10
; NumSGPRsForWavesPerEU: 18
; NumVGPRsForWavesPerEU: 83
; Occupancy: 16
; WaveLimiterHint : 1
; COMPUTE_PGM_RSRC2:SCRATCH_EN: 0
; COMPUTE_PGM_RSRC2:USER_SGPR: 15
; COMPUTE_PGM_RSRC2:TRAP_HANDLER: 0
; COMPUTE_PGM_RSRC2:TGID_X_EN: 1
; COMPUTE_PGM_RSRC2:TGID_Y_EN: 0
; COMPUTE_PGM_RSRC2:TGID_Z_EN: 0
; COMPUTE_PGM_RSRC2:TIDIG_COMP_CNT: 0
	.section	.text._Z6kernelI27subtract_right_partial_tileLj256ELj32ELb0EJPdPiS1_jEEvDpT3_,"axG",@progbits,_Z6kernelI27subtract_right_partial_tileLj256ELj32ELb0EJPdPiS1_jEEvDpT3_,comdat
	.protected	_Z6kernelI27subtract_right_partial_tileLj256ELj32ELb0EJPdPiS1_jEEvDpT3_ ; -- Begin function _Z6kernelI27subtract_right_partial_tileLj256ELj32ELb0EJPdPiS1_jEEvDpT3_
	.globl	_Z6kernelI27subtract_right_partial_tileLj256ELj32ELb0EJPdPiS1_jEEvDpT3_
	.p2align	8
	.type	_Z6kernelI27subtract_right_partial_tileLj256ELj32ELb0EJPdPiS1_jEEvDpT3_,@function
_Z6kernelI27subtract_right_partial_tileLj256ELj32ELb0EJPdPiS1_jEEvDpT3_: ; @_Z6kernelI27subtract_right_partial_tileLj256ELj32ELb0EJPdPiS1_jEEvDpT3_
; %bb.0:
	s_clause 0x1
	s_load_b128 s[4:7], s[0:1], 0x0
	s_load_b64 s[10:11], s[0:1], 0x10
	s_mov_b32 s13, 0
	s_lshl_b32 s12, s15, 13
	v_lshlrev_b32_e32 v67, 3, v0
	s_lshl_b64 s[8:9], s[12:13], 3
	s_mov_b32 s2, s15
	s_delay_alu instid0(VALU_DEP_1) | instskip(SKIP_4) | instid1(VALU_DEP_1)
	v_or_b32_e32 v100, 0x800, v67
	s_waitcnt lgkmcnt(0)
	s_add_u32 s4, s4, s8
	s_addc_u32 s5, s5, s9
	v_add_co_u32 v49, s3, s4, v67
	v_add_co_ci_u32_e64 v50, null, s5, 0, s3
	s_mov_b32 s3, s13
	s_delay_alu instid0(VALU_DEP_2) | instskip(NEXT) | instid1(VALU_DEP_2)
	v_add_co_u32 v3, vcc_lo, 0x1000, v49
	v_add_co_ci_u32_e32 v4, vcc_lo, 0, v50, vcc_lo
	v_add_co_u32 v5, vcc_lo, v49, 0x2000
	v_add_co_ci_u32_e32 v6, vcc_lo, 0, v50, vcc_lo
	v_add_co_u32 v7, vcc_lo, 0x2000, v49
	v_add_co_ci_u32_e32 v8, vcc_lo, 0, v50, vcc_lo
	v_add_co_u32 v9, vcc_lo, 0x3000, v49
	v_add_co_ci_u32_e32 v10, vcc_lo, 0, v50, vcc_lo
	v_add_co_u32 v11, vcc_lo, v49, 0x4000
	v_add_co_ci_u32_e32 v12, vcc_lo, 0, v50, vcc_lo
	v_add_co_u32 v15, vcc_lo, 0x4000, v49
	v_add_co_ci_u32_e32 v16, vcc_lo, 0, v50, vcc_lo
	s_clause 0x7
	global_load_b64 v[1:2], v[5:6], off offset:-4096
	global_load_b64 v[21:22], v[5:6], off
	global_load_b64 v[13:14], v[11:12], off offset:-4096
	global_load_b64 v[17:18], v[11:12], off
	global_load_b64 v[31:32], v[3:4], off offset:2048
	global_load_b64 v[29:30], v[7:8], off offset:2048
	global_load_b64 v[11:12], v[9:10], off offset:2048
	global_load_b64 v[9:10], v[15:16], off offset:2048
	v_add_co_u32 v3, vcc_lo, 0x5000, v49
	v_add_co_ci_u32_e32 v4, vcc_lo, 0, v50, vcc_lo
	v_add_co_u32 v5, vcc_lo, v49, 0x6000
	v_add_co_ci_u32_e32 v6, vcc_lo, 0, v50, vcc_lo
	v_add_co_u32 v23, vcc_lo, 0x6000, v49
	v_add_co_ci_u32_e32 v24, vcc_lo, 0, v50, vcc_lo
	v_add_co_u32 v33, vcc_lo, 0x7000, v49
	v_add_co_ci_u32_e32 v34, vcc_lo, 0, v50, vcc_lo
	v_add_co_u32 v15, vcc_lo, v49, 0x8000
	v_add_co_ci_u32_e32 v16, vcc_lo, 0, v50, vcc_lo
	v_add_co_u32 v35, vcc_lo, 0x8000, v49
	v_add_co_ci_u32_e32 v36, vcc_lo, 0, v50, vcc_lo
	s_clause 0x7
	global_load_b64 v[27:28], v[5:6], off offset:-4096
	global_load_b64 v[19:20], v[5:6], off
	global_load_b64 v[7:8], v[15:16], off offset:-4096
	global_load_b64 v[15:16], v[15:16], off
	global_load_b64 v[25:26], v[3:4], off offset:2048
	global_load_b64 v[23:24], v[23:24], off offset:2048
	global_load_b64 v[5:6], v[33:34], off offset:2048
	global_load_b64 v[3:4], v[35:36], off offset:2048
	;; [unrolled: 21-line block ×3, first 2 shown]
	v_add_co_u32 v41, vcc_lo, 0xd000, v49
	v_add_co_ci_u32_e32 v42, vcc_lo, 0, v50, vcc_lo
	v_add_co_u32 v43, vcc_lo, v49, 0xe000
	v_add_co_ci_u32_e32 v44, vcc_lo, 0, v50, vcc_lo
	v_add_co_u32 v47, vcc_lo, 0xe000, v49
	v_add_co_ci_u32_e32 v48, vcc_lo, 0, v50, vcc_lo
	v_add_co_u32 v61, vcc_lo, 0xf000, v49
	v_add_co_ci_u32_e32 v62, vcc_lo, 0, v50, vcc_lo
	s_clause 0x7
	global_load_b64 v[51:52], v[43:44], off offset:-4096
	global_load_b64 v[45:46], v[43:44], off
	global_load_b64 v[49:50], v[41:42], off offset:2048
	global_load_b64 v[47:48], v[47:48], off offset:2048
	global_load_b64 v[43:44], v[61:62], off
	global_load_b64 v[41:42], v[61:62], off offset:2048
	global_load_b64 v[63:64], v67, s[4:5]
	global_load_b64 v[61:62], v67, s[4:5] offset:2048
	s_load_b32 s4, s[0:1], 0x18
	s_lshl_b64 s[0:1], s[2:3], 2
	s_delay_alu instid0(SALU_CYCLE_1) | instskip(SKIP_4) | instid1(VALU_DEP_1)
	s_add_u32 s0, s6, s0
	s_addc_u32 s1, s7, s1
	s_waitcnt lgkmcnt(0)
	v_cvt_f32_u32_e32 v65, s4
	s_sub_i32 s3, 0, s4
	v_rcp_iflag_f32_e32 v65, v65
	s_waitcnt_depctr 0xfff
	v_mul_f32_e32 v65, 0x4f7ffffe, v65
	s_delay_alu instid0(VALU_DEP_1) | instskip(NEXT) | instid1(VALU_DEP_1)
	v_cvt_u32_f32_e32 v65, v65
	v_readfirstlane_b32 s2, v65
	v_lshlrev_b32_e32 v65, 5, v0
	s_delay_alu instid0(VALU_DEP_2) | instskip(NEXT) | instid1(VALU_DEP_1)
	s_mul_i32 s3, s3, s2
	v_or_b32_e32 v68, 1, v65
	s_mul_hi_u32 s3, s2, s3
	v_or_b32_e32 v69, 2, v65
	s_add_i32 s2, s2, s3
	v_or_b32_e32 v70, 3, v65
	s_lshr_b32 s2, s2, 19
	v_or_b32_e32 v71, 4, v65
	s_mul_i32 s3, s2, s4
	s_add_i32 s5, s2, 1
	s_sub_i32 s3, 0x2000, s3
	v_or_b32_e32 v72, 5, v65
	s_sub_i32 s6, s3, s4
	s_cmp_ge_u32 s3, s4
	v_or_b32_e32 v73, 6, v65
	s_cselect_b32 s3, s6, s3
	s_load_b32 s6, s[0:1], 0x0
	s_cselect_b32 s2, s5, s2
	v_or_b32_e32 v74, 7, v65
	s_add_i32 s5, s2, 1
	s_cmp_ge_u32 s3, s4
	v_or_b32_e32 v75, 8, v65
	v_or_b32_e32 v76, 9, v65
	;; [unrolled: 1-line block ×24, first 2 shown]
	v_add_nc_u32_e32 v99, 32, v65
	s_cselect_b32 s7, s5, s2
	s_max_u32 s12, s4, 1
	s_add_i32 s7, s7, 1
	s_branch .LBB209_2
.LBB209_1:                              ;   in Loop: Header=BB209_2 Depth=1
	s_or_b32 exec_lo, exec_lo, s0
	v_add_f64 v[103:104], v[61:62], -v[1:2]
	v_add_f64 v[105:106], v[1:2], -v[31:32]
	;; [unrolled: 1-line block ×13, first 2 shown]
	v_cmp_gt_u32_e32 vcc_lo, s6, v69
	v_add_f64 v[141:142], v[53:54], -v[55:56]
	v_add_f64 v[143:144], v[55:56], -v[39:40]
	v_cmp_gt_u32_e64 s0, s6, v70
	v_add_f64 v[107:108], v[31:32], -v[21:22]
	v_add_f64 v[145:146], v[39:40], -v[35:36]
	;; [unrolled: 1-line block ×16, first 2 shown]
	v_cmp_gt_u32_e64 s1, s6, v71
	v_cmp_gt_u32_e64 s2, s6, v72
	;; [unrolled: 1-line block ×5, first 2 shown]
	v_dual_cndmask_b32 v104, v62, v104 :: v_dual_cndmask_b32 v103, v61, v103
	v_cmp_gt_u32_e32 vcc_lo, s6, v75
	v_cndmask_b32_e64 v106, v2, v106, s0
	v_cndmask_b32_e64 v105, v1, v105, s0
	v_cmp_gt_u32_e64 s0, s6, v76
	v_add_f64 v[61:62], v[61:62], v[103:104]
	v_dual_cndmask_b32 v116, v12, v116 :: v_dual_cndmask_b32 v115, v11, v115
	v_cmp_gt_u32_e32 vcc_lo, s6, v78
	s_delay_alu instid0(VALU_DEP_4)
	v_cndmask_b32_e64 v118, v18, v118, s0
	v_cndmask_b32_e64 v117, v17, v117, s0
	v_cmp_gt_u32_e64 s0, s6, v79
	v_add_f64 v[1:2], v[1:2], v[105:106]
	v_dual_cndmask_b32 v122, v28, v122 :: v_dual_cndmask_b32 v121, v27, v121
	v_cmp_gt_u32_e32 vcc_lo, s6, v80
	s_delay_alu instid0(VALU_DEP_4)
	v_cndmask_b32_e64 v124, v26, v124, s0
	v_cndmask_b32_e64 v123, v25, v123, s0
	v_cmp_gt_u32_e64 s0, s6, v81
	v_cndmask_b32_e64 v108, v32, v108, s1
	v_dual_cndmask_b32 v126, v20, v126 :: v_dual_cndmask_b32 v125, v19, v125
	v_cmp_gt_u32_e32 vcc_lo, s6, v82
	s_delay_alu instid0(VALU_DEP_4)
	v_cndmask_b32_e64 v128, v24, v128, s0
	v_cndmask_b32_e64 v127, v23, v127, s0
	v_cmp_gt_u32_e64 s0, s6, v84
	v_cndmask_b32_e64 v107, v31, v107, s1
	v_dual_cndmask_b32 v130, v8, v130 :: v_dual_cndmask_b32 v129, v7, v129
	v_cmp_gt_u32_e32 vcc_lo, s6, v85
	s_delay_alu instid0(VALU_DEP_4)
	v_cndmask_b32_e64 v134, v16, v134, s0
	v_cndmask_b32_e64 v133, v15, v133, s0
	v_cmp_gt_u32_e64 s0, s6, v86
	v_cmp_gt_u32_e64 s1, s6, v77
	v_dual_cndmask_b32 v136, v4, v136 :: v_dual_cndmask_b32 v135, v3, v135
	v_cmp_gt_u32_e32 vcc_lo, s6, v87
	s_delay_alu instid0(VALU_DEP_4)
	v_cndmask_b32_e64 v138, v60, v138, s0
	v_cndmask_b32_e64 v137, v59, v137, s0
	v_cmp_gt_u32_e64 s0, s6, v88
	v_cndmask_b32_e64 v120, v10, v120, s1
	v_dual_cndmask_b32 v140, v58, v140 :: v_dual_cndmask_b32 v139, v57, v139
	v_cmp_gt_u32_e32 vcc_lo, s6, v89
	s_delay_alu instid0(VALU_DEP_4)
	v_cndmask_b32_e64 v142, v54, v142, s0
	v_cndmask_b32_e64 v141, v53, v141, s0
	v_cmp_gt_u32_e64 s0, s6, v90
	v_cndmask_b32_e64 v119, v9, v119, s1
	v_dual_cndmask_b32 v144, v56, v144 :: v_dual_cndmask_b32 v143, v55, v143
	v_cmp_gt_u32_e32 vcc_lo, s6, v91
	s_delay_alu instid0(VALU_DEP_4)
	v_cndmask_b32_e64 v146, v40, v146, s0
	v_cndmask_b32_e64 v145, v39, v145, s0
	v_cmp_gt_u32_e64 s0, s6, v92
	v_cmp_gt_u32_e64 s1, s6, v83
	v_dual_cndmask_b32 v148, v36, v148 :: v_dual_cndmask_b32 v147, v35, v147
	v_cmp_gt_u32_e32 vcc_lo, s6, v93
	s_delay_alu instid0(VALU_DEP_4)
	v_cndmask_b32_e64 v150, v38, v150, s0
	v_cndmask_b32_e64 v149, v37, v149, s0
	v_cmp_gt_u32_e64 s0, s6, v94
	v_cndmask_b32_e64 v132, v6, v132, s1
	v_dual_cndmask_b32 v152, v34, v152 :: v_dual_cndmask_b32 v151, v33, v151
	v_cmp_gt_u32_e32 vcc_lo, s6, v95
	v_cndmask_b32_e64 v131, v5, v131, s1
	v_cndmask_b32_e64 v154, v52, v154, s0
	;; [unrolled: 1-line block ×3, first 2 shown]
	v_cmp_gt_u32_e64 s0, s6, v96
	v_dual_cndmask_b32 v156, v50, v156 :: v_dual_cndmask_b32 v155, v49, v155
	v_cmp_gt_u32_e32 vcc_lo, s6, v97
	v_cmp_gt_u32_e64 s1, s6, v98
	v_cndmask_b32_e64 v102, v64, v102, s5
	v_cndmask_b32_e64 v101, v63, v101, s5
	;; [unrolled: 1-line block ×10, first 2 shown]
	v_dual_cndmask_b32 v160, v48, v160 :: v_dual_cndmask_b32 v159, v47, v159
	v_cndmask_b32_e64 v162, v44, v162, s1
	v_cndmask_b32_e64 v161, v43, v161, s1
	v_add_f64 v[63:64], v[63:64], v[101:102]
	v_add_f64 v[31:32], v[31:32], v[107:108]
	;; [unrolled: 1-line block ×30, first 2 shown]
	s_add_i32 s0, s7, s6
	s_add_i32 s12, s12, -1
	s_and_b32 s6, s0, 0x1fff
	s_cmp_lg_u32 s12, 0
	s_barrier
	buffer_gl0_inv
	s_cbranch_scc0 .LBB209_4
.LBB209_2:                              ; =>This Inner Loop Header: Depth=1
	s_waitcnt vmcnt(2)
	v_dual_mov_b32 v66, v42 :: v_dual_mov_b32 v65, v41
	s_mov_b32 s0, exec_lo
	s_waitcnt vmcnt(1)
	ds_store_b64 v67, v[63:64] offset:2048
	s_waitcnt vmcnt(0) lgkmcnt(0)
	s_barrier
	buffer_gl0_inv
	v_cmpx_gt_u32_e64 s6, v99
	s_cbranch_execz .LBB209_1
; %bb.3:                                ;   in Loop: Header=BB209_2 Depth=1
	ds_load_b64 v[65:66], v100 offset:8
	s_waitcnt lgkmcnt(0)
	v_add_f64 v[65:66], v[41:42], -v[65:66]
	s_branch .LBB209_1
.LBB209_4:
	v_lshlrev_b32_e32 v0, 3, v0
	s_add_u32 s0, s10, s8
	s_addc_u32 s1, s11, s9
	s_delay_alu instid0(VALU_DEP_1) | instskip(NEXT) | instid1(VALU_DEP_1)
	v_add_co_u32 v71, s2, s0, v0
	v_add_co_ci_u32_e64 v72, null, s1, 0, s2
	s_delay_alu instid0(VALU_DEP_2) | instskip(NEXT) | instid1(VALU_DEP_2)
	v_add_co_u32 v65, vcc_lo, 0x1000, v71
	v_add_co_ci_u32_e32 v66, vcc_lo, 0, v72, vcc_lo
	v_add_co_u32 v67, vcc_lo, v71, 0x2000
	v_add_co_ci_u32_e32 v68, vcc_lo, 0, v72, vcc_lo
	;; [unrolled: 2-line block ×3, first 2 shown]
	s_clause 0x4
	global_store_b64 v[67:68], v[21:22], off
	global_store_b64 v0, v[63:64], s[0:1]
	global_store_b64 v0, v[61:62], s[0:1] offset:2048
	global_store_b64 v[65:66], v[31:32], off offset:2048
	global_store_b64 v[69:70], v[29:30], off offset:2048
	v_add_co_u32 v21, vcc_lo, 0x3000, v71
	v_add_co_ci_u32_e32 v22, vcc_lo, 0, v72, vcc_lo
	v_add_co_u32 v29, vcc_lo, v71, 0x4000
	v_add_co_ci_u32_e32 v30, vcc_lo, 0, v72, vcc_lo
	;; [unrolled: 2-line block ×6, first 2 shown]
	s_clause 0x7
	global_store_b64 v[29:30], v[13:14], off offset:-4096
	global_store_b64 v[29:30], v[17:18], off
	global_store_b64 v[63:64], v[27:28], off offset:-4096
	global_store_b64 v[63:64], v[19:20], off
	global_store_b64 v[21:22], v[11:12], off offset:2048
	global_store_b64 v[31:32], v[9:10], off offset:2048
	global_store_b64 v[61:62], v[25:26], off offset:2048
	global_store_b64 v[65:66], v[23:24], off offset:2048
	v_add_co_u32 v9, vcc_lo, 0x7000, v71
	v_add_co_ci_u32_e32 v10, vcc_lo, 0, v72, vcc_lo
	v_add_co_u32 v11, vcc_lo, v71, 0x8000
	v_add_co_ci_u32_e32 v12, vcc_lo, 0, v72, vcc_lo
	;; [unrolled: 2-line block ×6, first 2 shown]
	s_clause 0x7
	global_store_b64 v[11:12], v[7:8], off offset:-4096
	global_store_b64 v[11:12], v[15:16], off
	global_store_b64 v[19:20], v[59:60], off offset:-4096
	global_store_b64 v[19:20], v[53:54], off
	global_store_b64 v[9:10], v[5:6], off offset:2048
	global_store_b64 v[13:14], v[3:4], off offset:2048
	;; [unrolled: 1-line block ×4, first 2 shown]
	v_add_co_u32 v3, vcc_lo, 0xb000, v71
	v_add_co_ci_u32_e32 v4, vcc_lo, 0, v72, vcc_lo
	v_add_co_u32 v5, vcc_lo, v71, 0xc000
	v_add_co_ci_u32_e32 v6, vcc_lo, 0, v72, vcc_lo
	;; [unrolled: 2-line block ×6, first 2 shown]
	s_clause 0x3
	global_store_b64 v[5:6], v[39:40], off offset:-4096
	global_store_b64 v[5:6], v[37:38], off
	global_store_b64 v[11:12], v[51:52], off offset:-4096
	global_store_b64 v[11:12], v[45:46], off
	v_add_co_u32 v5, vcc_lo, 0xf000, v71
	v_add_co_ci_u32_e32 v6, vcc_lo, 0, v72, vcc_lo
	s_clause 0x6
	global_store_b64 v[3:4], v[35:36], off offset:2048
	global_store_b64 v[7:8], v[33:34], off offset:2048
	;; [unrolled: 1-line block ×4, first 2 shown]
	global_store_b64 v[5:6], v[43:44], off
	global_store_b64 v[67:68], v[1:2], off offset:-4096
	global_store_b64 v[5:6], v[41:42], off offset:2048
	s_nop 0
	s_sendmsg sendmsg(MSG_DEALLOC_VGPRS)
	s_endpgm
	.section	.rodata,"a",@progbits
	.p2align	6, 0x0
	.amdhsa_kernel _Z6kernelI27subtract_right_partial_tileLj256ELj32ELb0EJPdPiS1_jEEvDpT3_
		.amdhsa_group_segment_fixed_size 4096
		.amdhsa_private_segment_fixed_size 0
		.amdhsa_kernarg_size 28
		.amdhsa_user_sgpr_count 15
		.amdhsa_user_sgpr_dispatch_ptr 0
		.amdhsa_user_sgpr_queue_ptr 0
		.amdhsa_user_sgpr_kernarg_segment_ptr 1
		.amdhsa_user_sgpr_dispatch_id 0
		.amdhsa_user_sgpr_private_segment_size 0
		.amdhsa_wavefront_size32 1
		.amdhsa_uses_dynamic_stack 0
		.amdhsa_enable_private_segment 0
		.amdhsa_system_sgpr_workgroup_id_x 1
		.amdhsa_system_sgpr_workgroup_id_y 0
		.amdhsa_system_sgpr_workgroup_id_z 0
		.amdhsa_system_sgpr_workgroup_info 0
		.amdhsa_system_vgpr_workitem_id 0
		.amdhsa_next_free_vgpr 163
		.amdhsa_next_free_sgpr 16
		.amdhsa_reserve_vcc 1
		.amdhsa_float_round_mode_32 0
		.amdhsa_float_round_mode_16_64 0
		.amdhsa_float_denorm_mode_32 3
		.amdhsa_float_denorm_mode_16_64 3
		.amdhsa_dx10_clamp 1
		.amdhsa_ieee_mode 1
		.amdhsa_fp16_overflow 0
		.amdhsa_workgroup_processor_mode 1
		.amdhsa_memory_ordered 1
		.amdhsa_forward_progress 0
		.amdhsa_shared_vgpr_count 0
		.amdhsa_exception_fp_ieee_invalid_op 0
		.amdhsa_exception_fp_denorm_src 0
		.amdhsa_exception_fp_ieee_div_zero 0
		.amdhsa_exception_fp_ieee_overflow 0
		.amdhsa_exception_fp_ieee_underflow 0
		.amdhsa_exception_fp_ieee_inexact 0
		.amdhsa_exception_int_div_zero 0
	.end_amdhsa_kernel
	.section	.text._Z6kernelI27subtract_right_partial_tileLj256ELj32ELb0EJPdPiS1_jEEvDpT3_,"axG",@progbits,_Z6kernelI27subtract_right_partial_tileLj256ELj32ELb0EJPdPiS1_jEEvDpT3_,comdat
.Lfunc_end209:
	.size	_Z6kernelI27subtract_right_partial_tileLj256ELj32ELb0EJPdPiS1_jEEvDpT3_, .Lfunc_end209-_Z6kernelI27subtract_right_partial_tileLj256ELj32ELb0EJPdPiS1_jEEvDpT3_
                                        ; -- End function
	.section	.AMDGPU.csdata,"",@progbits
; Kernel info:
; codeLenInByte = 2924
; NumSgprs: 18
; NumVgprs: 163
; ScratchSize: 0
; MemoryBound: 0
; FloatMode: 240
; IeeeMode: 1
; LDSByteSize: 4096 bytes/workgroup (compile time only)
; SGPRBlocks: 2
; VGPRBlocks: 20
; NumSGPRsForWavesPerEU: 18
; NumVGPRsForWavesPerEU: 163
; Occupancy: 9
; WaveLimiterHint : 1
; COMPUTE_PGM_RSRC2:SCRATCH_EN: 0
; COMPUTE_PGM_RSRC2:USER_SGPR: 15
; COMPUTE_PGM_RSRC2:TRAP_HANDLER: 0
; COMPUTE_PGM_RSRC2:TGID_X_EN: 1
; COMPUTE_PGM_RSRC2:TGID_Y_EN: 0
; COMPUTE_PGM_RSRC2:TGID_Z_EN: 0
; COMPUTE_PGM_RSRC2:TIDIG_COMP_CNT: 0
	.section	.text._Z6kernelI27subtract_right_partial_tileLj256ELj1ELb1EJPiS1_S1_jEEvDpT3_,"axG",@progbits,_Z6kernelI27subtract_right_partial_tileLj256ELj1ELb1EJPiS1_S1_jEEvDpT3_,comdat
	.protected	_Z6kernelI27subtract_right_partial_tileLj256ELj1ELb1EJPiS1_S1_jEEvDpT3_ ; -- Begin function _Z6kernelI27subtract_right_partial_tileLj256ELj1ELb1EJPiS1_S1_jEEvDpT3_
	.globl	_Z6kernelI27subtract_right_partial_tileLj256ELj1ELb1EJPiS1_S1_jEEvDpT3_
	.p2align	8
	.type	_Z6kernelI27subtract_right_partial_tileLj256ELj1ELb1EJPiS1_S1_jEEvDpT3_,@function
_Z6kernelI27subtract_right_partial_tileLj256ELj1ELb1EJPiS1_S1_jEEvDpT3_: ; @_Z6kernelI27subtract_right_partial_tileLj256ELj1ELb1EJPiS1_S1_jEEvDpT3_
; %bb.0:
	s_clause 0x1
	s_load_b128 s[8:11], s[0:1], 0x0
	s_load_b64 s[4:5], s[0:1], 0x10
	s_lshl_b32 s12, s15, 8
	s_mov_b32 s13, 0
	v_lshlrev_b32_e32 v2, 2, v0
	s_lshl_b64 s[2:3], s[12:13], 2
	s_mov_b32 s6, s15
	s_mov_b32 s7, s13
	s_waitcnt lgkmcnt(0)
	s_add_u32 s8, s8, s2
	s_addc_u32 s9, s9, s3
	global_load_b32 v1, v2, s[8:9]
	s_load_b32 s8, s[0:1], 0x18
	s_lshl_b64 s[0:1], s[6:7], 2
	s_delay_alu instid0(SALU_CYCLE_1)
	s_add_u32 s0, s10, s0
	s_addc_u32 s1, s11, s1
	s_load_b32 s0, s[0:1], 0x0
	s_waitcnt lgkmcnt(0)
	v_cvt_f32_u32_e32 v3, s8
	s_sub_i32 s7, 0, s8
	s_delay_alu instid0(VALU_DEP_1) | instskip(SKIP_3) | instid1(VALU_DEP_2)
	v_rcp_iflag_f32_e32 v3, v3
	s_waitcnt_depctr 0xfff
	v_mul_f32_e32 v3, 0x4f7ffffe, v3
	v_or_b32_e32 v4, 0x400, v2
	v_cvt_u32_f32_e32 v3, v3
	s_delay_alu instid0(VALU_DEP_1) | instskip(SKIP_1) | instid1(VALU_DEP_2)
	v_readfirstlane_b32 s6, v3
	v_add_nc_u32_e32 v3, 1, v0
	s_mul_i32 s7, s7, s6
	s_delay_alu instid0(SALU_CYCLE_1) | instskip(NEXT) | instid1(SALU_CYCLE_1)
	s_mul_hi_u32 s7, s6, s7
	s_add_i32 s6, s6, s7
	s_delay_alu instid0(SALU_CYCLE_1) | instskip(NEXT) | instid1(SALU_CYCLE_1)
	s_lshr_b32 s6, s6, 24
	s_mul_i32 s1, s6, s8
	s_add_i32 s7, s6, 1
	s_sub_i32 s1, 0x100, s1
	s_delay_alu instid0(SALU_CYCLE_1)
	s_sub_i32 s9, s1, s8
	s_cmp_ge_u32 s1, s8
	s_cselect_b32 s6, s7, s6
	s_cselect_b32 s1, s9, s1
	s_add_i32 s7, s6, 1
	s_cmp_ge_u32 s1, s8
	s_cselect_b32 s1, s7, s6
	s_max_u32 s6, s8, 1
	s_add_i32 s1, s1, 1
	s_branch .LBB210_2
	.p2align	6
.LBB210_1:                              ;   in Loop: Header=BB210_2 Depth=1
	s_or_b32 exec_lo, exec_lo, s7
	s_add_i32 s0, s1, s0
	s_delay_alu instid0(VALU_DEP_1)
	v_add_nc_u32_e32 v1, v5, v1
	s_add_i32 s6, s6, -1
	s_and_b32 s0, s0, 0xff
	s_cmp_lg_u32 s6, 0
	s_barrier
	buffer_gl0_inv
	s_cbranch_scc0 .LBB210_4
.LBB210_2:                              ; =>This Inner Loop Header: Depth=1
	s_waitcnt vmcnt(0)
	v_mov_b32_e32 v5, v1
	s_mov_b32 s7, exec_lo
	ds_store_b32 v2, v1 offset:1024
	s_waitcnt lgkmcnt(0)
	s_barrier
	buffer_gl0_inv
	v_cmpx_gt_u32_e64 s0, v3
	s_cbranch_execz .LBB210_1
; %bb.3:                                ;   in Loop: Header=BB210_2 Depth=1
	ds_load_b32 v5, v4 offset:4
	s_waitcnt lgkmcnt(0)
	v_sub_nc_u32_e32 v5, v1, v5
	s_branch .LBB210_1
.LBB210_4:
	v_lshlrev_b32_e32 v0, 2, v0
	s_add_u32 s0, s4, s2
	s_addc_u32 s1, s5, s3
	global_store_b32 v0, v1, s[0:1]
	s_nop 0
	s_sendmsg sendmsg(MSG_DEALLOC_VGPRS)
	s_endpgm
	.section	.rodata,"a",@progbits
	.p2align	6, 0x0
	.amdhsa_kernel _Z6kernelI27subtract_right_partial_tileLj256ELj1ELb1EJPiS1_S1_jEEvDpT3_
		.amdhsa_group_segment_fixed_size 2048
		.amdhsa_private_segment_fixed_size 0
		.amdhsa_kernarg_size 28
		.amdhsa_user_sgpr_count 15
		.amdhsa_user_sgpr_dispatch_ptr 0
		.amdhsa_user_sgpr_queue_ptr 0
		.amdhsa_user_sgpr_kernarg_segment_ptr 1
		.amdhsa_user_sgpr_dispatch_id 0
		.amdhsa_user_sgpr_private_segment_size 0
		.amdhsa_wavefront_size32 1
		.amdhsa_uses_dynamic_stack 0
		.amdhsa_enable_private_segment 0
		.amdhsa_system_sgpr_workgroup_id_x 1
		.amdhsa_system_sgpr_workgroup_id_y 0
		.amdhsa_system_sgpr_workgroup_id_z 0
		.amdhsa_system_sgpr_workgroup_info 0
		.amdhsa_system_vgpr_workitem_id 0
		.amdhsa_next_free_vgpr 6
		.amdhsa_next_free_sgpr 16
		.amdhsa_reserve_vcc 0
		.amdhsa_float_round_mode_32 0
		.amdhsa_float_round_mode_16_64 0
		.amdhsa_float_denorm_mode_32 3
		.amdhsa_float_denorm_mode_16_64 3
		.amdhsa_dx10_clamp 1
		.amdhsa_ieee_mode 1
		.amdhsa_fp16_overflow 0
		.amdhsa_workgroup_processor_mode 1
		.amdhsa_memory_ordered 1
		.amdhsa_forward_progress 0
		.amdhsa_shared_vgpr_count 0
		.amdhsa_exception_fp_ieee_invalid_op 0
		.amdhsa_exception_fp_denorm_src 0
		.amdhsa_exception_fp_ieee_div_zero 0
		.amdhsa_exception_fp_ieee_overflow 0
		.amdhsa_exception_fp_ieee_underflow 0
		.amdhsa_exception_fp_ieee_inexact 0
		.amdhsa_exception_int_div_zero 0
	.end_amdhsa_kernel
	.section	.text._Z6kernelI27subtract_right_partial_tileLj256ELj1ELb1EJPiS1_S1_jEEvDpT3_,"axG",@progbits,_Z6kernelI27subtract_right_partial_tileLj256ELj1ELb1EJPiS1_S1_jEEvDpT3_,comdat
.Lfunc_end210:
	.size	_Z6kernelI27subtract_right_partial_tileLj256ELj1ELb1EJPiS1_S1_jEEvDpT3_, .Lfunc_end210-_Z6kernelI27subtract_right_partial_tileLj256ELj1ELb1EJPiS1_S1_jEEvDpT3_
                                        ; -- End function
	.section	.AMDGPU.csdata,"",@progbits
; Kernel info:
; codeLenInByte = 384
; NumSgprs: 16
; NumVgprs: 6
; ScratchSize: 0
; MemoryBound: 0
; FloatMode: 240
; IeeeMode: 1
; LDSByteSize: 2048 bytes/workgroup (compile time only)
; SGPRBlocks: 1
; VGPRBlocks: 0
; NumSGPRsForWavesPerEU: 16
; NumVGPRsForWavesPerEU: 6
; Occupancy: 16
; WaveLimiterHint : 0
; COMPUTE_PGM_RSRC2:SCRATCH_EN: 0
; COMPUTE_PGM_RSRC2:USER_SGPR: 15
; COMPUTE_PGM_RSRC2:TRAP_HANDLER: 0
; COMPUTE_PGM_RSRC2:TGID_X_EN: 1
; COMPUTE_PGM_RSRC2:TGID_Y_EN: 0
; COMPUTE_PGM_RSRC2:TGID_Z_EN: 0
; COMPUTE_PGM_RSRC2:TIDIG_COMP_CNT: 0
	.section	.text._Z6kernelI27subtract_right_partial_tileLj256ELj3ELb1EJPiS1_S1_jEEvDpT3_,"axG",@progbits,_Z6kernelI27subtract_right_partial_tileLj256ELj3ELb1EJPiS1_S1_jEEvDpT3_,comdat
	.protected	_Z6kernelI27subtract_right_partial_tileLj256ELj3ELb1EJPiS1_S1_jEEvDpT3_ ; -- Begin function _Z6kernelI27subtract_right_partial_tileLj256ELj3ELb1EJPiS1_S1_jEEvDpT3_
	.globl	_Z6kernelI27subtract_right_partial_tileLj256ELj3ELb1EJPiS1_S1_jEEvDpT3_
	.p2align	8
	.type	_Z6kernelI27subtract_right_partial_tileLj256ELj3ELb1EJPiS1_S1_jEEvDpT3_,@function
_Z6kernelI27subtract_right_partial_tileLj256ELj3ELb1EJPiS1_S1_jEEvDpT3_: ; @_Z6kernelI27subtract_right_partial_tileLj256ELj3ELb1EJPiS1_S1_jEEvDpT3_
; %bb.0:
	s_clause 0x1
	s_load_b128 s[8:11], s[0:1], 0x0
	s_load_b64 s[4:5], s[0:1], 0x10
	s_mov_b32 s13, 0
	s_mul_i32 s12, s15, 0x300
	v_lshlrev_b32_e32 v4, 2, v0
	s_lshl_b64 s[2:3], s[12:13], 2
	s_mov_b32 s6, s15
	s_mov_b32 s7, s13
	v_mad_u32_u24 v6, v0, 3, 2
	v_mad_u32_u24 v7, v0, 3, 3
	s_waitcnt lgkmcnt(0)
	s_add_u32 s8, s8, s2
	s_addc_u32 s9, s9, s3
	s_clause 0x2
	global_load_b32 v1, v4, s[8:9]
	global_load_b32 v2, v4, s[8:9] offset:1024
	global_load_b32 v3, v4, s[8:9] offset:2048
	s_load_b32 s8, s[0:1], 0x18
	s_lshl_b64 s[0:1], s[6:7], 2
	s_delay_alu instid0(SALU_CYCLE_1)
	s_add_u32 s0, s10, s0
	s_addc_u32 s1, s11, s1
	s_load_b32 s0, s[0:1], 0x0
	s_waitcnt lgkmcnt(0)
	v_cvt_f32_u32_e32 v5, s8
	s_sub_i32 s7, 0, s8
	s_delay_alu instid0(VALU_DEP_1) | instskip(SKIP_3) | instid1(VALU_DEP_2)
	v_rcp_iflag_f32_e32 v5, v5
	s_waitcnt_depctr 0xfff
	v_mul_f32_e32 v5, 0x4f7ffffe, v5
	v_or_b32_e32 v8, 0x400, v4
	v_cvt_u32_f32_e32 v5, v5
	s_delay_alu instid0(VALU_DEP_1) | instskip(SKIP_1) | instid1(VALU_DEP_2)
	v_readfirstlane_b32 s6, v5
	v_mad_u32_u24 v5, v0, 3, 1
	s_mul_i32 s7, s7, s6
	s_delay_alu instid0(SALU_CYCLE_1) | instskip(NEXT) | instid1(SALU_CYCLE_1)
	s_mul_hi_u32 s7, s6, s7
	s_add_i32 s6, s6, s7
	s_delay_alu instid0(SALU_CYCLE_1) | instskip(NEXT) | instid1(SALU_CYCLE_1)
	s_mul_hi_u32 s6, s6, 0x300
	s_mul_i32 s7, s6, s8
	s_delay_alu instid0(SALU_CYCLE_1)
	s_sub_i32 s1, 0x300, s7
	s_add_i32 s7, s6, 1
	s_sub_i32 s9, s1, s8
	s_cmp_ge_u32 s1, s8
	s_cselect_b32 s6, s7, s6
	s_cselect_b32 s1, s9, s1
	s_add_i32 s7, s6, 1
	s_cmp_ge_u32 s1, s8
	s_cselect_b32 s1, s7, s6
	s_max_u32 s6, s8, 1
	s_add_i32 s1, s1, 1
	s_set_inst_prefetch_distance 0x1
	s_branch .LBB211_2
	.p2align	6
.LBB211_1:                              ;   in Loop: Header=BB211_2 Depth=1
	s_or_b32 exec_lo, exec_lo, s7
	s_add_i32 s0, s1, s0
	v_add_nc_u32_e32 v1, v9, v1
	s_mul_hi_u32 s7, s0, 0xaaaaaaab
	v_add_nc_u32_e32 v2, v10, v2
	s_lshr_b32 s7, s7, 9
	v_add_nc_u32_e32 v3, v11, v3
	s_mulk_i32 s7, 0x300
	s_add_i32 s6, s6, -1
	s_sub_i32 s0, s0, s7
	s_cmp_lg_u32 s6, 0
	s_barrier
	buffer_gl0_inv
	s_cbranch_scc0 .LBB211_4
.LBB211_2:                              ; =>This Inner Loop Header: Depth=1
	s_waitcnt vmcnt(1)
	v_sub_nc_u32_e32 v9, v1, v2
	v_cmp_gt_u32_e32 vcc_lo, s0, v5
	s_waitcnt vmcnt(0)
	v_sub_nc_u32_e32 v10, v2, v3
	v_mov_b32_e32 v11, v3
	s_mov_b32 s7, exec_lo
	ds_store_b32 v4, v1 offset:1024
	v_cndmask_b32_e32 v9, v1, v9, vcc_lo
	v_cmp_gt_u32_e32 vcc_lo, s0, v6
	s_waitcnt lgkmcnt(0)
	s_barrier
	buffer_gl0_inv
	v_cndmask_b32_e32 v10, v2, v10, vcc_lo
	v_cmpx_gt_u32_e64 s0, v7
	s_cbranch_execz .LBB211_1
; %bb.3:                                ;   in Loop: Header=BB211_2 Depth=1
	ds_load_b32 v11, v8 offset:4
	s_waitcnt lgkmcnt(0)
	v_sub_nc_u32_e32 v11, v3, v11
	s_branch .LBB211_1
.LBB211_4:
	s_set_inst_prefetch_distance 0x2
	v_lshlrev_b32_e32 v0, 2, v0
	s_add_u32 s0, s4, s2
	s_addc_u32 s1, s5, s3
	s_clause 0x2
	global_store_b32 v0, v1, s[0:1]
	global_store_b32 v0, v2, s[0:1] offset:1024
	global_store_b32 v0, v3, s[0:1] offset:2048
	s_nop 0
	s_sendmsg sendmsg(MSG_DEALLOC_VGPRS)
	s_endpgm
	.section	.rodata,"a",@progbits
	.p2align	6, 0x0
	.amdhsa_kernel _Z6kernelI27subtract_right_partial_tileLj256ELj3ELb1EJPiS1_S1_jEEvDpT3_
		.amdhsa_group_segment_fixed_size 2048
		.amdhsa_private_segment_fixed_size 0
		.amdhsa_kernarg_size 28
		.amdhsa_user_sgpr_count 15
		.amdhsa_user_sgpr_dispatch_ptr 0
		.amdhsa_user_sgpr_queue_ptr 0
		.amdhsa_user_sgpr_kernarg_segment_ptr 1
		.amdhsa_user_sgpr_dispatch_id 0
		.amdhsa_user_sgpr_private_segment_size 0
		.amdhsa_wavefront_size32 1
		.amdhsa_uses_dynamic_stack 0
		.amdhsa_enable_private_segment 0
		.amdhsa_system_sgpr_workgroup_id_x 1
		.amdhsa_system_sgpr_workgroup_id_y 0
		.amdhsa_system_sgpr_workgroup_id_z 0
		.amdhsa_system_sgpr_workgroup_info 0
		.amdhsa_system_vgpr_workitem_id 0
		.amdhsa_next_free_vgpr 12
		.amdhsa_next_free_sgpr 16
		.amdhsa_reserve_vcc 1
		.amdhsa_float_round_mode_32 0
		.amdhsa_float_round_mode_16_64 0
		.amdhsa_float_denorm_mode_32 3
		.amdhsa_float_denorm_mode_16_64 3
		.amdhsa_dx10_clamp 1
		.amdhsa_ieee_mode 1
		.amdhsa_fp16_overflow 0
		.amdhsa_workgroup_processor_mode 1
		.amdhsa_memory_ordered 1
		.amdhsa_forward_progress 0
		.amdhsa_shared_vgpr_count 0
		.amdhsa_exception_fp_ieee_invalid_op 0
		.amdhsa_exception_fp_denorm_src 0
		.amdhsa_exception_fp_ieee_div_zero 0
		.amdhsa_exception_fp_ieee_overflow 0
		.amdhsa_exception_fp_ieee_underflow 0
		.amdhsa_exception_fp_ieee_inexact 0
		.amdhsa_exception_int_div_zero 0
	.end_amdhsa_kernel
	.section	.text._Z6kernelI27subtract_right_partial_tileLj256ELj3ELb1EJPiS1_S1_jEEvDpT3_,"axG",@progbits,_Z6kernelI27subtract_right_partial_tileLj256ELj3ELb1EJPiS1_S1_jEEvDpT3_,comdat
.Lfunc_end211:
	.size	_Z6kernelI27subtract_right_partial_tileLj256ELj3ELb1EJPiS1_S1_jEEvDpT3_, .Lfunc_end211-_Z6kernelI27subtract_right_partial_tileLj256ELj3ELb1EJPiS1_S1_jEEvDpT3_
                                        ; -- End function
	.section	.AMDGPU.csdata,"",@progbits
; Kernel info:
; codeLenInByte = 504
; NumSgprs: 18
; NumVgprs: 12
; ScratchSize: 0
; MemoryBound: 0
; FloatMode: 240
; IeeeMode: 1
; LDSByteSize: 2048 bytes/workgroup (compile time only)
; SGPRBlocks: 2
; VGPRBlocks: 1
; NumSGPRsForWavesPerEU: 18
; NumVGPRsForWavesPerEU: 12
; Occupancy: 16
; WaveLimiterHint : 1
; COMPUTE_PGM_RSRC2:SCRATCH_EN: 0
; COMPUTE_PGM_RSRC2:USER_SGPR: 15
; COMPUTE_PGM_RSRC2:TRAP_HANDLER: 0
; COMPUTE_PGM_RSRC2:TGID_X_EN: 1
; COMPUTE_PGM_RSRC2:TGID_Y_EN: 0
; COMPUTE_PGM_RSRC2:TGID_Z_EN: 0
; COMPUTE_PGM_RSRC2:TIDIG_COMP_CNT: 0
	.section	.text._Z6kernelI27subtract_right_partial_tileLj256ELj4ELb1EJPiS1_S1_jEEvDpT3_,"axG",@progbits,_Z6kernelI27subtract_right_partial_tileLj256ELj4ELb1EJPiS1_S1_jEEvDpT3_,comdat
	.protected	_Z6kernelI27subtract_right_partial_tileLj256ELj4ELb1EJPiS1_S1_jEEvDpT3_ ; -- Begin function _Z6kernelI27subtract_right_partial_tileLj256ELj4ELb1EJPiS1_S1_jEEvDpT3_
	.globl	_Z6kernelI27subtract_right_partial_tileLj256ELj4ELb1EJPiS1_S1_jEEvDpT3_
	.p2align	8
	.type	_Z6kernelI27subtract_right_partial_tileLj256ELj4ELb1EJPiS1_S1_jEEvDpT3_,@function
_Z6kernelI27subtract_right_partial_tileLj256ELj4ELb1EJPiS1_S1_jEEvDpT3_: ; @_Z6kernelI27subtract_right_partial_tileLj256ELj4ELb1EJPiS1_S1_jEEvDpT3_
; %bb.0:
	s_clause 0x1
	s_load_b128 s[8:11], s[0:1], 0x0
	s_load_b64 s[4:5], s[0:1], 0x10
	s_mov_b32 s13, 0
	s_lshl_b32 s12, s15, 10
	v_lshlrev_b32_e32 v5, 2, v0
	s_lshl_b64 s[2:3], s[12:13], 2
	s_mov_b32 s6, s15
	s_mov_b32 s7, s13
	s_waitcnt lgkmcnt(0)
	s_add_u32 s8, s8, s2
	s_addc_u32 s9, s9, s3
	s_clause 0x3
	global_load_b32 v1, v5, s[8:9]
	global_load_b32 v2, v5, s[8:9] offset:1024
	global_load_b32 v3, v5, s[8:9] offset:2048
	;; [unrolled: 1-line block ×3, first 2 shown]
	s_load_b32 s8, s[0:1], 0x18
	s_lshl_b64 s[0:1], s[6:7], 2
	s_delay_alu instid0(SALU_CYCLE_1)
	s_add_u32 s0, s10, s0
	s_addc_u32 s1, s11, s1
	s_load_b32 s0, s[0:1], 0x0
	s_waitcnt lgkmcnt(0)
	v_cvt_f32_u32_e32 v6, s8
	s_sub_i32 s7, 0, s8
	s_delay_alu instid0(VALU_DEP_1)
	v_rcp_iflag_f32_e32 v6, v6
	s_waitcnt_depctr 0xfff
	v_mul_f32_e32 v6, 0x4f7ffffe, v6
	v_or_b32_e32 v7, 2, v5
	v_or_b32_e32 v8, 3, v5
	v_add_nc_u32_e32 v9, 4, v5
	v_or_b32_e32 v10, 0x400, v5
	v_cvt_u32_f32_e32 v6, v6
	s_delay_alu instid0(VALU_DEP_1) | instskip(SKIP_1) | instid1(VALU_DEP_2)
	v_readfirstlane_b32 s6, v6
	v_or_b32_e32 v6, 1, v5
	s_mul_i32 s7, s7, s6
	s_delay_alu instid0(SALU_CYCLE_1) | instskip(NEXT) | instid1(SALU_CYCLE_1)
	s_mul_hi_u32 s7, s6, s7
	s_add_i32 s6, s6, s7
	s_delay_alu instid0(SALU_CYCLE_1) | instskip(NEXT) | instid1(SALU_CYCLE_1)
	s_lshr_b32 s6, s6, 22
	s_mul_i32 s7, s6, s8
	s_delay_alu instid0(SALU_CYCLE_1)
	s_sub_i32 s1, 0x400, s7
	s_add_i32 s7, s6, 1
	s_sub_i32 s9, s1, s8
	s_cmp_ge_u32 s1, s8
	s_cselect_b32 s6, s7, s6
	s_cselect_b32 s1, s9, s1
	s_add_i32 s7, s6, 1
	s_cmp_ge_u32 s1, s8
	s_cselect_b32 s1, s7, s6
	s_max_u32 s6, s8, 1
	s_add_i32 s1, s1, 1
	s_set_inst_prefetch_distance 0x1
	s_branch .LBB212_2
	.p2align	6
.LBB212_1:                              ;   in Loop: Header=BB212_2 Depth=1
	s_or_b32 exec_lo, exec_lo, s7
	v_add_nc_u32_e32 v1, v11, v1
	v_add_nc_u32_e32 v2, v12, v2
	;; [unrolled: 1-line block ×3, first 2 shown]
	s_add_i32 s0, s1, s0
	v_add_nc_u32_e32 v4, v14, v4
	s_add_i32 s6, s6, -1
	s_and_b32 s0, s0, 0x3ff
	s_cmp_lg_u32 s6, 0
	s_barrier
	buffer_gl0_inv
	s_cbranch_scc0 .LBB212_4
.LBB212_2:                              ; =>This Inner Loop Header: Depth=1
	s_waitcnt vmcnt(2)
	v_sub_nc_u32_e32 v11, v1, v2
	v_cmp_gt_u32_e32 vcc_lo, s0, v6
	s_waitcnt vmcnt(1)
	v_sub_nc_u32_e32 v12, v2, v3
	s_waitcnt vmcnt(0)
	v_sub_nc_u32_e32 v13, v3, v4
	s_mov_b32 s7, exec_lo
	ds_store_b32 v5, v1 offset:1024
	v_cndmask_b32_e32 v11, v1, v11, vcc_lo
	v_cmp_gt_u32_e32 vcc_lo, s0, v7
	s_waitcnt lgkmcnt(0)
	s_barrier
	buffer_gl0_inv
	v_mov_b32_e32 v14, v4
	v_cndmask_b32_e32 v12, v2, v12, vcc_lo
	v_cmp_gt_u32_e32 vcc_lo, s0, v8
	v_cndmask_b32_e32 v13, v3, v13, vcc_lo
	v_cmpx_gt_u32_e64 s0, v9
	s_cbranch_execz .LBB212_1
; %bb.3:                                ;   in Loop: Header=BB212_2 Depth=1
	ds_load_b32 v14, v10 offset:4
	s_waitcnt lgkmcnt(0)
	v_sub_nc_u32_e32 v14, v4, v14
	s_branch .LBB212_1
.LBB212_4:
	s_set_inst_prefetch_distance 0x2
	v_lshlrev_b32_e32 v0, 2, v0
	s_add_u32 s0, s4, s2
	s_addc_u32 s1, s5, s3
	s_clause 0x3
	global_store_b32 v0, v1, s[0:1]
	global_store_b32 v0, v2, s[0:1] offset:1024
	global_store_b32 v0, v3, s[0:1] offset:2048
	;; [unrolled: 1-line block ×3, first 2 shown]
	s_nop 0
	s_sendmsg sendmsg(MSG_DEALLOC_VGPRS)
	s_endpgm
	.section	.rodata,"a",@progbits
	.p2align	6, 0x0
	.amdhsa_kernel _Z6kernelI27subtract_right_partial_tileLj256ELj4ELb1EJPiS1_S1_jEEvDpT3_
		.amdhsa_group_segment_fixed_size 2048
		.amdhsa_private_segment_fixed_size 0
		.amdhsa_kernarg_size 28
		.amdhsa_user_sgpr_count 15
		.amdhsa_user_sgpr_dispatch_ptr 0
		.amdhsa_user_sgpr_queue_ptr 0
		.amdhsa_user_sgpr_kernarg_segment_ptr 1
		.amdhsa_user_sgpr_dispatch_id 0
		.amdhsa_user_sgpr_private_segment_size 0
		.amdhsa_wavefront_size32 1
		.amdhsa_uses_dynamic_stack 0
		.amdhsa_enable_private_segment 0
		.amdhsa_system_sgpr_workgroup_id_x 1
		.amdhsa_system_sgpr_workgroup_id_y 0
		.amdhsa_system_sgpr_workgroup_id_z 0
		.amdhsa_system_sgpr_workgroup_info 0
		.amdhsa_system_vgpr_workitem_id 0
		.amdhsa_next_free_vgpr 15
		.amdhsa_next_free_sgpr 16
		.amdhsa_reserve_vcc 1
		.amdhsa_float_round_mode_32 0
		.amdhsa_float_round_mode_16_64 0
		.amdhsa_float_denorm_mode_32 3
		.amdhsa_float_denorm_mode_16_64 3
		.amdhsa_dx10_clamp 1
		.amdhsa_ieee_mode 1
		.amdhsa_fp16_overflow 0
		.amdhsa_workgroup_processor_mode 1
		.amdhsa_memory_ordered 1
		.amdhsa_forward_progress 0
		.amdhsa_shared_vgpr_count 0
		.amdhsa_exception_fp_ieee_invalid_op 0
		.amdhsa_exception_fp_denorm_src 0
		.amdhsa_exception_fp_ieee_div_zero 0
		.amdhsa_exception_fp_ieee_overflow 0
		.amdhsa_exception_fp_ieee_underflow 0
		.amdhsa_exception_fp_ieee_inexact 0
		.amdhsa_exception_int_div_zero 0
	.end_amdhsa_kernel
	.section	.text._Z6kernelI27subtract_right_partial_tileLj256ELj4ELb1EJPiS1_S1_jEEvDpT3_,"axG",@progbits,_Z6kernelI27subtract_right_partial_tileLj256ELj4ELb1EJPiS1_S1_jEEvDpT3_,comdat
.Lfunc_end212:
	.size	_Z6kernelI27subtract_right_partial_tileLj256ELj4ELb1EJPiS1_S1_jEEvDpT3_, .Lfunc_end212-_Z6kernelI27subtract_right_partial_tileLj256ELj4ELb1EJPiS1_S1_jEEvDpT3_
                                        ; -- End function
	.section	.AMDGPU.csdata,"",@progbits
; Kernel info:
; codeLenInByte = 512
; NumSgprs: 18
; NumVgprs: 15
; ScratchSize: 0
; MemoryBound: 0
; FloatMode: 240
; IeeeMode: 1
; LDSByteSize: 2048 bytes/workgroup (compile time only)
; SGPRBlocks: 2
; VGPRBlocks: 1
; NumSGPRsForWavesPerEU: 18
; NumVGPRsForWavesPerEU: 15
; Occupancy: 16
; WaveLimiterHint : 1
; COMPUTE_PGM_RSRC2:SCRATCH_EN: 0
; COMPUTE_PGM_RSRC2:USER_SGPR: 15
; COMPUTE_PGM_RSRC2:TRAP_HANDLER: 0
; COMPUTE_PGM_RSRC2:TGID_X_EN: 1
; COMPUTE_PGM_RSRC2:TGID_Y_EN: 0
; COMPUTE_PGM_RSRC2:TGID_Z_EN: 0
; COMPUTE_PGM_RSRC2:TIDIG_COMP_CNT: 0
	.section	.text._Z6kernelI27subtract_right_partial_tileLj256ELj8ELb1EJPiS1_S1_jEEvDpT3_,"axG",@progbits,_Z6kernelI27subtract_right_partial_tileLj256ELj8ELb1EJPiS1_S1_jEEvDpT3_,comdat
	.protected	_Z6kernelI27subtract_right_partial_tileLj256ELj8ELb1EJPiS1_S1_jEEvDpT3_ ; -- Begin function _Z6kernelI27subtract_right_partial_tileLj256ELj8ELb1EJPiS1_S1_jEEvDpT3_
	.globl	_Z6kernelI27subtract_right_partial_tileLj256ELj8ELb1EJPiS1_S1_jEEvDpT3_
	.p2align	8
	.type	_Z6kernelI27subtract_right_partial_tileLj256ELj8ELb1EJPiS1_S1_jEEvDpT3_,@function
_Z6kernelI27subtract_right_partial_tileLj256ELj8ELb1EJPiS1_S1_jEEvDpT3_: ; @_Z6kernelI27subtract_right_partial_tileLj256ELj8ELb1EJPiS1_S1_jEEvDpT3_
; %bb.0:
	s_clause 0x1
	s_load_b128 s[4:7], s[0:1], 0x0
	s_load_b64 s[8:9], s[0:1], 0x10
	s_mov_b32 s13, 0
	s_lshl_b32 s12, s15, 11
	v_lshlrev_b32_e32 v9, 2, v0
	s_lshl_b64 s[2:3], s[12:13], 2
	s_mov_b32 s10, s15
	v_lshlrev_b32_e32 v17, 3, v0
	s_delay_alu instid0(VALU_DEP_1)
	v_or_b32_e32 v12, 3, v17
	v_or_b32_e32 v13, 4, v17
	;; [unrolled: 1-line block ×5, first 2 shown]
	s_waitcnt lgkmcnt(0)
	s_add_u32 s4, s4, s2
	s_addc_u32 s5, s5, s3
	v_add_co_u32 v1, s11, s4, v9
	s_delay_alu instid0(VALU_DEP_1) | instskip(SKIP_1) | instid1(VALU_DEP_2)
	v_add_co_ci_u32_e64 v2, null, s5, 0, s11
	s_mov_b32 s11, s13
	v_add_co_u32 v10, vcc_lo, 0x1000, v1
	s_delay_alu instid0(VALU_DEP_2)
	v_add_co_ci_u32_e32 v11, vcc_lo, 0, v2, vcc_lo
	s_clause 0x7
	global_load_b32 v1, v9, s[4:5]
	global_load_b32 v2, v9, s[4:5] offset:1024
	global_load_b32 v3, v9, s[4:5] offset:2048
	;; [unrolled: 1-line block ×3, first 2 shown]
	global_load_b32 v5, v[10:11], off
	global_load_b32 v6, v[10:11], off offset:1024
	global_load_b32 v7, v[10:11], off offset:2048
	;; [unrolled: 1-line block ×3, first 2 shown]
	s_load_b32 s4, s[0:1], 0x18
	s_lshl_b64 s[0:1], s[10:11], 2
	v_or_b32_e32 v11, 2, v17
	s_add_u32 s0, s6, s0
	s_addc_u32 s1, s7, s1
	s_load_b32 s0, s[0:1], 0x0
	s_waitcnt lgkmcnt(0)
	v_cvt_f32_u32_e32 v10, s4
	s_sub_i32 s6, 0, s4
	s_delay_alu instid0(VALU_DEP_1) | instskip(SKIP_3) | instid1(VALU_DEP_2)
	v_rcp_iflag_f32_e32 v10, v10
	s_waitcnt_depctr 0xfff
	v_mul_f32_e32 v10, 0x4f7ffffe, v10
	v_or_b32_e32 v18, 0x400, v9
	v_cvt_u32_f32_e32 v10, v10
	s_delay_alu instid0(VALU_DEP_1) | instskip(SKIP_2) | instid1(VALU_DEP_3)
	v_readfirstlane_b32 s5, v10
	v_or_b32_e32 v10, 1, v17
	v_add_nc_u32_e32 v17, 8, v17
	s_mul_i32 s6, s6, s5
	s_delay_alu instid0(SALU_CYCLE_1) | instskip(NEXT) | instid1(SALU_CYCLE_1)
	s_mul_hi_u32 s6, s5, s6
	s_add_i32 s5, s5, s6
	s_delay_alu instid0(SALU_CYCLE_1) | instskip(NEXT) | instid1(SALU_CYCLE_1)
	s_lshr_b32 s5, s5, 21
	s_mul_i32 s6, s5, s4
	s_add_i32 s7, s5, 1
	s_sub_i32 s6, 0x800, s6
	s_delay_alu instid0(SALU_CYCLE_1)
	s_sub_i32 s10, s6, s4
	s_cmp_ge_u32 s6, s4
	s_cselect_b32 s1, s7, s5
	s_cselect_b32 s5, s10, s6
	s_add_i32 s6, s1, 1
	s_cmp_ge_u32 s5, s4
	s_cselect_b32 s1, s6, s1
	s_max_u32 s4, s4, 1
	s_add_i32 s1, s1, 1
	s_branch .LBB213_2
.LBB213_1:                              ;   in Loop: Header=BB213_2 Depth=1
	s_or_b32 exec_lo, exec_lo, s5
	v_cmp_gt_u32_e32 vcc_lo, s0, v10
	s_add_i32 s4, s4, -1
	s_barrier
	buffer_gl0_inv
	v_cndmask_b32_e32 v20, 0, v2, vcc_lo
	v_cmp_gt_u32_e32 vcc_lo, s0, v11
	v_cndmask_b32_e32 v21, 0, v3, vcc_lo
	v_cmp_gt_u32_e32 vcc_lo, s0, v12
	s_delay_alu instid0(VALU_DEP_4) | instskip(NEXT) | instid1(VALU_DEP_3)
	v_sub_nc_u32_e32 v20, v1, v20
	v_sub_nc_u32_e32 v21, v2, v21
	v_cndmask_b32_e32 v22, 0, v4, vcc_lo
	v_cmp_gt_u32_e32 vcc_lo, s0, v13
	s_delay_alu instid0(VALU_DEP_4) | instskip(NEXT) | instid1(VALU_DEP_4)
	v_add_nc_u32_e32 v1, v20, v1
	v_dual_cndmask_b32 v23, 0, v5 :: v_dual_add_nc_u32 v2, v21, v2
	v_cmp_gt_u32_e32 vcc_lo, s0, v14
	v_sub_nc_u32_e32 v22, v3, v22
	s_delay_alu instid0(VALU_DEP_3) | instskip(SKIP_2) | instid1(VALU_DEP_4)
	v_sub_nc_u32_e32 v23, v4, v23
	v_cndmask_b32_e32 v24, 0, v6, vcc_lo
	v_cmp_gt_u32_e32 vcc_lo, s0, v15
	v_add_nc_u32_e32 v3, v22, v3
	s_delay_alu instid0(VALU_DEP_4) | instskip(SKIP_3) | instid1(VALU_DEP_3)
	v_dual_cndmask_b32 v25, 0, v7 :: v_dual_add_nc_u32 v4, v23, v4
	v_cmp_gt_u32_e32 vcc_lo, s0, v16
	v_sub_nc_u32_e32 v24, v5, v24
	s_add_i32 s0, s1, s0
	v_sub_nc_u32_e32 v25, v6, v25
	s_delay_alu instid0(VALU_DEP_2) | instskip(SKIP_2) | instid1(VALU_DEP_3)
	v_dual_cndmask_b32 v26, 0, v8 :: v_dual_add_nc_u32 v5, v24, v5
	v_add_nc_u32_e32 v8, v19, v8
	s_and_b32 s0, s0, 0x7ff
	v_add_nc_u32_e32 v6, v25, v6
	s_delay_alu instid0(VALU_DEP_3) | instskip(SKIP_1) | instid1(VALU_DEP_1)
	v_sub_nc_u32_e32 v26, v7, v26
	s_cmp_lg_u32 s4, 0
	v_add_nc_u32_e32 v7, v26, v7
	s_cbranch_scc0 .LBB213_4
.LBB213_2:                              ; =>This Inner Loop Header: Depth=1
	s_waitcnt vmcnt(0)
	v_mov_b32_e32 v19, v8
	s_mov_b32 s5, exec_lo
	ds_store_b32 v9, v1 offset:1024
	s_waitcnt lgkmcnt(0)
	s_barrier
	buffer_gl0_inv
	v_cmpx_gt_u32_e64 s0, v17
	s_cbranch_execz .LBB213_1
; %bb.3:                                ;   in Loop: Header=BB213_2 Depth=1
	ds_load_b32 v19, v18 offset:4
	s_waitcnt lgkmcnt(0)
	v_sub_nc_u32_e32 v19, v8, v19
	s_branch .LBB213_1
.LBB213_4:
	v_lshlrev_b32_e32 v0, 2, v0
	s_add_u32 s0, s8, s2
	s_addc_u32 s1, s9, s3
	s_delay_alu instid0(VALU_DEP_1) | instskip(NEXT) | instid1(VALU_DEP_1)
	v_add_co_u32 v9, s2, s0, v0
	v_add_co_ci_u32_e64 v10, null, s1, 0, s2
	s_delay_alu instid0(VALU_DEP_2) | instskip(NEXT) | instid1(VALU_DEP_2)
	v_add_co_u32 v9, vcc_lo, 0x1000, v9
	v_add_co_ci_u32_e32 v10, vcc_lo, 0, v10, vcc_lo
	s_clause 0x7
	global_store_b32 v0, v1, s[0:1]
	global_store_b32 v0, v2, s[0:1] offset:1024
	global_store_b32 v0, v3, s[0:1] offset:2048
	;; [unrolled: 1-line block ×3, first 2 shown]
	global_store_b32 v[9:10], v5, off
	global_store_b32 v[9:10], v6, off offset:1024
	global_store_b32 v[9:10], v7, off offset:2048
	;; [unrolled: 1-line block ×3, first 2 shown]
	s_nop 0
	s_sendmsg sendmsg(MSG_DEALLOC_VGPRS)
	s_endpgm
	.section	.rodata,"a",@progbits
	.p2align	6, 0x0
	.amdhsa_kernel _Z6kernelI27subtract_right_partial_tileLj256ELj8ELb1EJPiS1_S1_jEEvDpT3_
		.amdhsa_group_segment_fixed_size 2048
		.amdhsa_private_segment_fixed_size 0
		.amdhsa_kernarg_size 28
		.amdhsa_user_sgpr_count 15
		.amdhsa_user_sgpr_dispatch_ptr 0
		.amdhsa_user_sgpr_queue_ptr 0
		.amdhsa_user_sgpr_kernarg_segment_ptr 1
		.amdhsa_user_sgpr_dispatch_id 0
		.amdhsa_user_sgpr_private_segment_size 0
		.amdhsa_wavefront_size32 1
		.amdhsa_uses_dynamic_stack 0
		.amdhsa_enable_private_segment 0
		.amdhsa_system_sgpr_workgroup_id_x 1
		.amdhsa_system_sgpr_workgroup_id_y 0
		.amdhsa_system_sgpr_workgroup_id_z 0
		.amdhsa_system_sgpr_workgroup_info 0
		.amdhsa_system_vgpr_workitem_id 0
		.amdhsa_next_free_vgpr 27
		.amdhsa_next_free_sgpr 16
		.amdhsa_reserve_vcc 1
		.amdhsa_float_round_mode_32 0
		.amdhsa_float_round_mode_16_64 0
		.amdhsa_float_denorm_mode_32 3
		.amdhsa_float_denorm_mode_16_64 3
		.amdhsa_dx10_clamp 1
		.amdhsa_ieee_mode 1
		.amdhsa_fp16_overflow 0
		.amdhsa_workgroup_processor_mode 1
		.amdhsa_memory_ordered 1
		.amdhsa_forward_progress 0
		.amdhsa_shared_vgpr_count 0
		.amdhsa_exception_fp_ieee_invalid_op 0
		.amdhsa_exception_fp_denorm_src 0
		.amdhsa_exception_fp_ieee_div_zero 0
		.amdhsa_exception_fp_ieee_overflow 0
		.amdhsa_exception_fp_ieee_underflow 0
		.amdhsa_exception_fp_ieee_inexact 0
		.amdhsa_exception_int_div_zero 0
	.end_amdhsa_kernel
	.section	.text._Z6kernelI27subtract_right_partial_tileLj256ELj8ELb1EJPiS1_S1_jEEvDpT3_,"axG",@progbits,_Z6kernelI27subtract_right_partial_tileLj256ELj8ELb1EJPiS1_S1_jEEvDpT3_,comdat
.Lfunc_end213:
	.size	_Z6kernelI27subtract_right_partial_tileLj256ELj8ELb1EJPiS1_S1_jEEvDpT3_, .Lfunc_end213-_Z6kernelI27subtract_right_partial_tileLj256ELj8ELb1EJPiS1_S1_jEEvDpT3_
                                        ; -- End function
	.section	.AMDGPU.csdata,"",@progbits
; Kernel info:
; codeLenInByte = 748
; NumSgprs: 18
; NumVgprs: 27
; ScratchSize: 0
; MemoryBound: 0
; FloatMode: 240
; IeeeMode: 1
; LDSByteSize: 2048 bytes/workgroup (compile time only)
; SGPRBlocks: 2
; VGPRBlocks: 3
; NumSGPRsForWavesPerEU: 18
; NumVGPRsForWavesPerEU: 27
; Occupancy: 16
; WaveLimiterHint : 1
; COMPUTE_PGM_RSRC2:SCRATCH_EN: 0
; COMPUTE_PGM_RSRC2:USER_SGPR: 15
; COMPUTE_PGM_RSRC2:TRAP_HANDLER: 0
; COMPUTE_PGM_RSRC2:TGID_X_EN: 1
; COMPUTE_PGM_RSRC2:TGID_Y_EN: 0
; COMPUTE_PGM_RSRC2:TGID_Z_EN: 0
; COMPUTE_PGM_RSRC2:TIDIG_COMP_CNT: 0
	.section	.text._Z6kernelI27subtract_right_partial_tileLj256ELj16ELb1EJPiS1_S1_jEEvDpT3_,"axG",@progbits,_Z6kernelI27subtract_right_partial_tileLj256ELj16ELb1EJPiS1_S1_jEEvDpT3_,comdat
	.protected	_Z6kernelI27subtract_right_partial_tileLj256ELj16ELb1EJPiS1_S1_jEEvDpT3_ ; -- Begin function _Z6kernelI27subtract_right_partial_tileLj256ELj16ELb1EJPiS1_S1_jEEvDpT3_
	.globl	_Z6kernelI27subtract_right_partial_tileLj256ELj16ELb1EJPiS1_S1_jEEvDpT3_
	.p2align	8
	.type	_Z6kernelI27subtract_right_partial_tileLj256ELj16ELb1EJPiS1_S1_jEEvDpT3_,@function
_Z6kernelI27subtract_right_partial_tileLj256ELj16ELb1EJPiS1_S1_jEEvDpT3_: ; @_Z6kernelI27subtract_right_partial_tileLj256ELj16ELb1EJPiS1_S1_jEEvDpT3_
; %bb.0:
	s_clause 0x1
	s_load_b128 s[4:7], s[0:1], 0x0
	s_load_b64 s[8:9], s[0:1], 0x10
	s_mov_b32 s13, 0
	s_lshl_b32 s12, s15, 12
	v_lshlrev_b32_e32 v17, 2, v0
	s_lshl_b64 s[2:3], s[12:13], 2
	s_mov_b32 s10, s15
	v_lshlrev_b32_e32 v33, 4, v0
	s_delay_alu instid0(VALU_DEP_1)
	v_or_b32_e32 v22, 5, v33
	v_or_b32_e32 v23, 6, v33
	;; [unrolled: 1-line block ×8, first 2 shown]
	s_waitcnt lgkmcnt(0)
	s_add_u32 s4, s4, s2
	s_addc_u32 s5, s5, s3
	v_add_co_u32 v10, s11, s4, v17
	s_delay_alu instid0(VALU_DEP_1)
	v_add_co_ci_u32_e64 v11, null, s5, 0, s11
	s_clause 0x3
	global_load_b32 v4, v17, s[4:5]
	global_load_b32 v3, v17, s[4:5] offset:1024
	global_load_b32 v2, v17, s[4:5] offset:2048
	;; [unrolled: 1-line block ×3, first 2 shown]
	v_add_co_u32 v6, vcc_lo, 0x1000, v10
	v_add_co_ci_u32_e32 v7, vcc_lo, 0, v11, vcc_lo
	v_add_co_u32 v8, vcc_lo, v10, 0x2000
	v_add_co_ci_u32_e32 v9, vcc_lo, 0, v11, vcc_lo
	;; [unrolled: 2-line block ×3, first 2 shown]
	v_add_co_u32 v20, vcc_lo, 0x3000, v10
	s_clause 0x1
	global_load_b32 v5, v[8:9], off offset:-4096
	global_load_b32 v16, v[8:9], off
	v_add_co_ci_u32_e32 v21, vcc_lo, 0, v11, vcc_lo
	s_clause 0x9
	global_load_b32 v15, v[6:7], off offset:1024
	global_load_b32 v14, v[6:7], off offset:2048
	;; [unrolled: 1-line block ×6, first 2 shown]
	global_load_b32 v9, v[20:21], off
	global_load_b32 v8, v[20:21], off offset:1024
	global_load_b32 v7, v[20:21], off offset:2048
	;; [unrolled: 1-line block ×3, first 2 shown]
	s_load_b32 s4, s[0:1], 0x18
	s_mov_b32 s11, s13
	v_or_b32_e32 v19, 2, v33
	s_lshl_b64 s[0:1], s[10:11], 2
	v_or_b32_e32 v20, 3, v33
	s_add_u32 s0, s6, s0
	s_addc_u32 s1, s7, s1
	v_or_b32_e32 v21, 4, v33
	s_load_b32 s0, s[0:1], 0x0
	v_or_b32_e32 v30, 13, v33
	v_or_b32_e32 v31, 14, v33
	;; [unrolled: 1-line block ×3, first 2 shown]
	s_waitcnt lgkmcnt(0)
	v_cvt_f32_u32_e32 v18, s4
	s_sub_i32 s6, 0, s4
	s_delay_alu instid0(VALU_DEP_1) | instskip(SKIP_3) | instid1(VALU_DEP_2)
	v_rcp_iflag_f32_e32 v18, v18
	s_waitcnt_depctr 0xfff
	v_mul_f32_e32 v18, 0x4f7ffffe, v18
	v_or_b32_e32 v34, 0x400, v17
	v_cvt_u32_f32_e32 v18, v18
	s_delay_alu instid0(VALU_DEP_1) | instskip(SKIP_2) | instid1(VALU_DEP_3)
	v_readfirstlane_b32 s5, v18
	v_or_b32_e32 v18, 1, v33
	v_add_nc_u32_e32 v33, 16, v33
	s_mul_i32 s6, s6, s5
	s_delay_alu instid0(SALU_CYCLE_1) | instskip(NEXT) | instid1(SALU_CYCLE_1)
	s_mul_hi_u32 s6, s5, s6
	s_add_i32 s5, s5, s6
	s_delay_alu instid0(SALU_CYCLE_1) | instskip(NEXT) | instid1(SALU_CYCLE_1)
	s_lshr_b32 s5, s5, 20
	s_mul_i32 s6, s5, s4
	s_add_i32 s7, s5, 1
	s_sub_i32 s6, 0x1000, s6
	s_delay_alu instid0(SALU_CYCLE_1)
	s_sub_i32 s10, s6, s4
	s_cmp_ge_u32 s6, s4
	s_cselect_b32 s5, s7, s5
	s_cselect_b32 s6, s10, s6
	s_add_i32 s7, s5, 1
	s_cmp_ge_u32 s6, s4
	s_cselect_b32 s1, s7, s5
	s_max_u32 s4, s4, 1
	s_add_i32 s1, s1, 1
	s_branch .LBB214_2
.LBB214_1:                              ;   in Loop: Header=BB214_2 Depth=1
	s_or_b32 exec_lo, exec_lo, s5
	v_cmp_gt_u32_e32 vcc_lo, s0, v18
	s_add_i32 s4, s4, -1
	s_barrier
	buffer_gl0_inv
	v_cndmask_b32_e32 v36, 0, v3, vcc_lo
	v_cmp_gt_u32_e32 vcc_lo, s0, v19
	v_cndmask_b32_e32 v37, 0, v2, vcc_lo
	v_cmp_gt_u32_e32 vcc_lo, s0, v20
	s_delay_alu instid0(VALU_DEP_4) | instskip(NEXT) | instid1(VALU_DEP_3)
	v_sub_nc_u32_e32 v36, v4, v36
	v_sub_nc_u32_e32 v37, v3, v37
	v_cndmask_b32_e32 v38, 0, v1, vcc_lo
	v_cmp_gt_u32_e32 vcc_lo, s0, v21
	s_delay_alu instid0(VALU_DEP_4) | instskip(NEXT) | instid1(VALU_DEP_4)
	v_add_nc_u32_e32 v4, v36, v4
	v_add_nc_u32_e32 v3, v37, v3
	v_cndmask_b32_e32 v39, 0, v5, vcc_lo
	v_cmp_gt_u32_e32 vcc_lo, s0, v22
	v_cndmask_b32_e32 v40, 0, v15, vcc_lo
	v_cmp_gt_u32_e32 vcc_lo, s0, v23
	s_delay_alu instid0(VALU_DEP_4) | instskip(NEXT) | instid1(VALU_DEP_3)
	v_sub_nc_u32_e32 v39, v1, v39
	v_sub_nc_u32_e32 v40, v5, v40
	v_cndmask_b32_e32 v41, 0, v14, vcc_lo
	v_cmp_gt_u32_e32 vcc_lo, s0, v24
	v_sub_nc_u32_e32 v38, v2, v38
	v_add_nc_u32_e32 v1, v39, v1
	v_add_nc_u32_e32 v5, v40, v5
	v_sub_nc_u32_e32 v41, v15, v41
	v_cndmask_b32_e32 v42, 0, v13, vcc_lo
	v_cmp_gt_u32_e32 vcc_lo, s0, v25
	v_add_nc_u32_e32 v2, v38, v2
	s_delay_alu instid0(VALU_DEP_4) | instskip(SKIP_3) | instid1(VALU_DEP_3)
	v_add_nc_u32_e32 v15, v41, v15
	v_cndmask_b32_e32 v43, 0, v16, vcc_lo
	v_cmp_gt_u32_e32 vcc_lo, s0, v26
	v_sub_nc_u32_e32 v42, v14, v42
	v_sub_nc_u32_e32 v43, v13, v43
	v_cndmask_b32_e32 v44, 0, v12, vcc_lo
	v_cmp_gt_u32_e32 vcc_lo, s0, v27
	s_delay_alu instid0(VALU_DEP_4) | instskip(NEXT) | instid1(VALU_DEP_4)
	v_add_nc_u32_e32 v14, v42, v14
	v_add_nc_u32_e32 v13, v43, v13
	v_cndmask_b32_e32 v45, 0, v11, vcc_lo
	v_cmp_gt_u32_e32 vcc_lo, s0, v28
	v_sub_nc_u32_e32 v44, v16, v44
	s_delay_alu instid0(VALU_DEP_3) | instskip(SKIP_2) | instid1(VALU_DEP_4)
	v_sub_nc_u32_e32 v45, v12, v45
	v_cndmask_b32_e32 v46, 0, v10, vcc_lo
	v_cmp_gt_u32_e32 vcc_lo, s0, v29
	v_add_nc_u32_e32 v16, v44, v16
	s_delay_alu instid0(VALU_DEP_4) | instskip(SKIP_2) | instid1(VALU_DEP_3)
	v_dual_cndmask_b32 v47, 0, v9 :: v_dual_add_nc_u32 v12, v45, v12
	v_cmp_gt_u32_e32 vcc_lo, s0, v30
	v_sub_nc_u32_e32 v46, v11, v46
	v_sub_nc_u32_e32 v47, v10, v47
	v_cndmask_b32_e32 v48, 0, v8, vcc_lo
	v_cmp_gt_u32_e32 vcc_lo, s0, v31
	s_delay_alu instid0(VALU_DEP_4) | instskip(NEXT) | instid1(VALU_DEP_4)
	v_add_nc_u32_e32 v11, v46, v11
	v_dual_cndmask_b32 v49, 0, v7 :: v_dual_add_nc_u32 v10, v47, v10
	v_cmp_gt_u32_e32 vcc_lo, s0, v32
	v_sub_nc_u32_e32 v48, v9, v48
	s_add_i32 s0, s1, s0
	s_delay_alu instid0(VALU_DEP_3) | instskip(NEXT) | instid1(VALU_DEP_2)
	v_sub_nc_u32_e32 v49, v8, v49
	v_dual_cndmask_b32 v50, 0, v6 :: v_dual_add_nc_u32 v9, v48, v9
	v_add_nc_u32_e32 v6, v35, v6
	s_and_b32 s0, s0, 0xfff
	s_delay_alu instid0(VALU_DEP_3) | instskip(NEXT) | instid1(VALU_DEP_3)
	v_add_nc_u32_e32 v8, v49, v8
	v_sub_nc_u32_e32 v50, v7, v50
	s_cmp_lg_u32 s4, 0
	s_delay_alu instid0(VALU_DEP_1)
	v_add_nc_u32_e32 v7, v50, v7
	s_cbranch_scc0 .LBB214_4
.LBB214_2:                              ; =>This Inner Loop Header: Depth=1
	s_waitcnt vmcnt(0)
	v_mov_b32_e32 v35, v6
	s_mov_b32 s5, exec_lo
	ds_store_b32 v17, v4 offset:1024
	s_waitcnt lgkmcnt(0)
	s_barrier
	buffer_gl0_inv
	v_cmpx_gt_u32_e64 s0, v33
	s_cbranch_execz .LBB214_1
; %bb.3:                                ;   in Loop: Header=BB214_2 Depth=1
	ds_load_b32 v35, v34 offset:4
	s_waitcnt lgkmcnt(0)
	v_sub_nc_u32_e32 v35, v6, v35
	s_branch .LBB214_1
.LBB214_4:
	v_lshlrev_b32_e32 v0, 2, v0
	s_add_u32 s0, s8, s2
	s_addc_u32 s1, s9, s3
	s_delay_alu instid0(VALU_DEP_1) | instskip(NEXT) | instid1(VALU_DEP_1)
	v_add_co_u32 v23, s2, s0, v0
	v_add_co_ci_u32_e64 v24, null, s1, 0, s2
	s_delay_alu instid0(VALU_DEP_2) | instskip(NEXT) | instid1(VALU_DEP_2)
	v_add_co_u32 v17, vcc_lo, 0x1000, v23
	v_add_co_ci_u32_e32 v18, vcc_lo, 0, v24, vcc_lo
	v_add_co_u32 v19, vcc_lo, v23, 0x2000
	v_add_co_ci_u32_e32 v20, vcc_lo, 0, v24, vcc_lo
	;; [unrolled: 2-line block ×3, first 2 shown]
	v_add_co_u32 v23, vcc_lo, 0x3000, v23
	global_store_b32 v[19:20], v16, off
	v_add_co_ci_u32_e32 v24, vcc_lo, 0, v24, vcc_lo
	s_clause 0xe
	global_store_b32 v0, v4, s[0:1]
	global_store_b32 v0, v3, s[0:1] offset:1024
	global_store_b32 v0, v2, s[0:1] offset:2048
	;; [unrolled: 1-line block ×3, first 2 shown]
	global_store_b32 v[17:18], v15, off offset:1024
	global_store_b32 v[17:18], v14, off offset:2048
	global_store_b32 v[17:18], v13, off offset:3072
	global_store_b32 v[21:22], v12, off offset:1024
	global_store_b32 v[21:22], v11, off offset:2048
	global_store_b32 v[21:22], v10, off offset:3072
	global_store_b32 v[23:24], v9, off
	global_store_b32 v[23:24], v8, off offset:1024
	global_store_b32 v[23:24], v7, off offset:2048
	global_store_b32 v[19:20], v5, off offset:-4096
	global_store_b32 v[23:24], v6, off offset:3072
	s_nop 0
	s_sendmsg sendmsg(MSG_DEALLOC_VGPRS)
	s_endpgm
	.section	.rodata,"a",@progbits
	.p2align	6, 0x0
	.amdhsa_kernel _Z6kernelI27subtract_right_partial_tileLj256ELj16ELb1EJPiS1_S1_jEEvDpT3_
		.amdhsa_group_segment_fixed_size 2048
		.amdhsa_private_segment_fixed_size 0
		.amdhsa_kernarg_size 28
		.amdhsa_user_sgpr_count 15
		.amdhsa_user_sgpr_dispatch_ptr 0
		.amdhsa_user_sgpr_queue_ptr 0
		.amdhsa_user_sgpr_kernarg_segment_ptr 1
		.amdhsa_user_sgpr_dispatch_id 0
		.amdhsa_user_sgpr_private_segment_size 0
		.amdhsa_wavefront_size32 1
		.amdhsa_uses_dynamic_stack 0
		.amdhsa_enable_private_segment 0
		.amdhsa_system_sgpr_workgroup_id_x 1
		.amdhsa_system_sgpr_workgroup_id_y 0
		.amdhsa_system_sgpr_workgroup_id_z 0
		.amdhsa_system_sgpr_workgroup_info 0
		.amdhsa_system_vgpr_workitem_id 0
		.amdhsa_next_free_vgpr 51
		.amdhsa_next_free_sgpr 16
		.amdhsa_reserve_vcc 1
		.amdhsa_float_round_mode_32 0
		.amdhsa_float_round_mode_16_64 0
		.amdhsa_float_denorm_mode_32 3
		.amdhsa_float_denorm_mode_16_64 3
		.amdhsa_dx10_clamp 1
		.amdhsa_ieee_mode 1
		.amdhsa_fp16_overflow 0
		.amdhsa_workgroup_processor_mode 1
		.amdhsa_memory_ordered 1
		.amdhsa_forward_progress 0
		.amdhsa_shared_vgpr_count 0
		.amdhsa_exception_fp_ieee_invalid_op 0
		.amdhsa_exception_fp_denorm_src 0
		.amdhsa_exception_fp_ieee_div_zero 0
		.amdhsa_exception_fp_ieee_overflow 0
		.amdhsa_exception_fp_ieee_underflow 0
		.amdhsa_exception_fp_ieee_inexact 0
		.amdhsa_exception_int_div_zero 0
	.end_amdhsa_kernel
	.section	.text._Z6kernelI27subtract_right_partial_tileLj256ELj16ELb1EJPiS1_S1_jEEvDpT3_,"axG",@progbits,_Z6kernelI27subtract_right_partial_tileLj256ELj16ELb1EJPiS1_S1_jEEvDpT3_,comdat
.Lfunc_end214:
	.size	_Z6kernelI27subtract_right_partial_tileLj256ELj16ELb1EJPiS1_S1_jEEvDpT3_, .Lfunc_end214-_Z6kernelI27subtract_right_partial_tileLj256ELj16ELb1EJPiS1_S1_jEEvDpT3_
                                        ; -- End function
	.section	.AMDGPU.csdata,"",@progbits
; Kernel info:
; codeLenInByte = 1156
; NumSgprs: 18
; NumVgprs: 51
; ScratchSize: 0
; MemoryBound: 0
; FloatMode: 240
; IeeeMode: 1
; LDSByteSize: 2048 bytes/workgroup (compile time only)
; SGPRBlocks: 2
; VGPRBlocks: 6
; NumSGPRsForWavesPerEU: 18
; NumVGPRsForWavesPerEU: 51
; Occupancy: 16
; WaveLimiterHint : 1
; COMPUTE_PGM_RSRC2:SCRATCH_EN: 0
; COMPUTE_PGM_RSRC2:USER_SGPR: 15
; COMPUTE_PGM_RSRC2:TRAP_HANDLER: 0
; COMPUTE_PGM_RSRC2:TGID_X_EN: 1
; COMPUTE_PGM_RSRC2:TGID_Y_EN: 0
; COMPUTE_PGM_RSRC2:TGID_Z_EN: 0
; COMPUTE_PGM_RSRC2:TIDIG_COMP_CNT: 0
	.section	.text._Z6kernelI27subtract_right_partial_tileLj256ELj32ELb1EJPiS1_S1_jEEvDpT3_,"axG",@progbits,_Z6kernelI27subtract_right_partial_tileLj256ELj32ELb1EJPiS1_S1_jEEvDpT3_,comdat
	.protected	_Z6kernelI27subtract_right_partial_tileLj256ELj32ELb1EJPiS1_S1_jEEvDpT3_ ; -- Begin function _Z6kernelI27subtract_right_partial_tileLj256ELj32ELb1EJPiS1_S1_jEEvDpT3_
	.globl	_Z6kernelI27subtract_right_partial_tileLj256ELj32ELb1EJPiS1_S1_jEEvDpT3_
	.p2align	8
	.type	_Z6kernelI27subtract_right_partial_tileLj256ELj32ELb1EJPiS1_S1_jEEvDpT3_,@function
_Z6kernelI27subtract_right_partial_tileLj256ELj32ELb1EJPiS1_S1_jEEvDpT3_: ; @_Z6kernelI27subtract_right_partial_tileLj256ELj32ELb1EJPiS1_S1_jEEvDpT3_
; %bb.0:
	s_clause 0x1
	s_load_b128 s[4:7], s[0:1], 0x0
	s_load_b64 s[8:9], s[0:1], 0x10
	s_mov_b32 s13, 0
	s_lshl_b32 s12, s15, 13
	v_lshlrev_b32_e32 v25, 2, v0
	s_lshl_b64 s[2:3], s[12:13], 2
	s_mov_b32 s10, s15
	v_lshlrev_b32_e32 v65, 5, v0
	s_delay_alu instid0(VALU_DEP_1)
	v_or_b32_e32 v38, 5, v65
	v_or_b32_e32 v39, 6, v65
	;; [unrolled: 1-line block ×8, first 2 shown]
	s_waitcnt lgkmcnt(0)
	s_add_u32 s4, s4, s2
	s_addc_u32 s5, s5, s3
	v_add_co_u32 v30, s11, s4, v25
	s_delay_alu instid0(VALU_DEP_1)
	v_add_co_ci_u32_e64 v31, null, s5, 0, s11
	s_clause 0x3
	global_load_b32 v5, v25, s[4:5]
	global_load_b32 v4, v25, s[4:5] offset:1024
	global_load_b32 v3, v25, s[4:5] offset:2048
	;; [unrolled: 1-line block ×3, first 2 shown]
	v_add_co_u32 v6, vcc_lo, 0x1000, v30
	v_add_co_ci_u32_e32 v7, vcc_lo, 0, v31, vcc_lo
	v_add_co_u32 v10, vcc_lo, v30, 0x2000
	v_add_co_ci_u32_e32 v11, vcc_lo, 0, v31, vcc_lo
	;; [unrolled: 2-line block ×9, first 2 shown]
	v_add_co_u32 v36, vcc_lo, 0x7000, v30
	s_clause 0xd
	global_load_b32 v29, v[6:7], off offset:1024
	global_load_b32 v28, v[6:7], off offset:2048
	;; [unrolled: 1-line block ×8, first 2 shown]
	global_load_b32 v1, v[10:11], off offset:-4096
	global_load_b32 v14, v[10:11], off
	global_load_b32 v13, v[17:18], off offset:-4096
	global_load_b32 v12, v[17:18], off
	;; [unrolled: 2-line block ×3, first 2 shown]
	v_add_co_ci_u32_e32 v37, vcc_lo, 0, v31, vcc_lo
	s_clause 0xd
	global_load_b32 v33, v[15:16], off offset:3072
	global_load_b32 v32, v[19:20], off offset:1024
	;; [unrolled: 1-line block ×10, first 2 shown]
	global_load_b32 v18, v[36:37], off
	global_load_b32 v17, v[36:37], off offset:1024
	global_load_b32 v16, v[36:37], off offset:2048
	;; [unrolled: 1-line block ×3, first 2 shown]
	s_load_b32 s4, s[0:1], 0x18
	s_mov_b32 s11, s13
	v_or_b32_e32 v35, 2, v65
	s_lshl_b64 s[0:1], s[10:11], 2
	v_or_b32_e32 v36, 3, v65
	s_add_u32 s0, s6, s0
	s_addc_u32 s1, s7, s1
	v_or_b32_e32 v37, 4, v65
	s_load_b32 s0, s[0:1], 0x0
	v_or_b32_e32 v46, 13, v65
	v_or_b32_e32 v47, 14, v65
	;; [unrolled: 1-line block ×11, first 2 shown]
	s_waitcnt lgkmcnt(0)
	v_cvt_f32_u32_e32 v34, s4
	s_sub_i32 s6, 0, s4
	v_or_b32_e32 v57, 24, v65
	v_or_b32_e32 v58, 25, v65
	;; [unrolled: 1-line block ×3, first 2 shown]
	v_rcp_iflag_f32_e32 v34, v34
	v_or_b32_e32 v60, 27, v65
	v_or_b32_e32 v61, 28, v65
	;; [unrolled: 1-line block ×5, first 2 shown]
	s_waitcnt_depctr 0xfff
	v_mul_f32_e32 v34, 0x4f7ffffe, v34
	v_or_b32_e32 v66, 0x400, v25
	s_delay_alu instid0(VALU_DEP_2) | instskip(NEXT) | instid1(VALU_DEP_1)
	v_cvt_u32_f32_e32 v34, v34
	v_readfirstlane_b32 s5, v34
	v_or_b32_e32 v34, 1, v65
	v_add_nc_u32_e32 v65, 32, v65
	s_delay_alu instid0(VALU_DEP_3) | instskip(NEXT) | instid1(SALU_CYCLE_1)
	s_mul_i32 s6, s6, s5
	s_mul_hi_u32 s6, s5, s6
	s_delay_alu instid0(SALU_CYCLE_1) | instskip(NEXT) | instid1(SALU_CYCLE_1)
	s_add_i32 s5, s5, s6
	s_lshr_b32 s5, s5, 19
	s_delay_alu instid0(SALU_CYCLE_1) | instskip(SKIP_2) | instid1(SALU_CYCLE_1)
	s_mul_i32 s6, s5, s4
	s_add_i32 s7, s5, 1
	s_sub_i32 s6, 0x2000, s6
	s_sub_i32 s10, s6, s4
	s_cmp_ge_u32 s6, s4
	s_cselect_b32 s5, s7, s5
	s_cselect_b32 s6, s10, s6
	s_add_i32 s7, s5, 1
	s_cmp_ge_u32 s6, s4
	s_cselect_b32 s1, s7, s5
	s_max_u32 s4, s4, 1
	s_add_i32 s1, s1, 1
	s_branch .LBB215_2
.LBB215_1:                              ;   in Loop: Header=BB215_2 Depth=1
	s_or_b32 exec_lo, exec_lo, s5
	v_cmp_gt_u32_e32 vcc_lo, s0, v34
	s_add_i32 s4, s4, -1
	s_barrier
	buffer_gl0_inv
	v_cndmask_b32_e32 v68, 0, v4, vcc_lo
	v_cmp_gt_u32_e32 vcc_lo, s0, v35
	v_cndmask_b32_e32 v69, 0, v3, vcc_lo
	v_cmp_gt_u32_e32 vcc_lo, s0, v36
	s_delay_alu instid0(VALU_DEP_4) | instskip(NEXT) | instid1(VALU_DEP_3)
	v_sub_nc_u32_e32 v68, v5, v68
	v_sub_nc_u32_e32 v69, v4, v69
	v_cndmask_b32_e32 v70, 0, v2, vcc_lo
	v_cmp_gt_u32_e32 vcc_lo, s0, v37
	s_delay_alu instid0(VALU_DEP_4) | instskip(NEXT) | instid1(VALU_DEP_4)
	v_add_nc_u32_e32 v5, v68, v5
	v_dual_cndmask_b32 v71, 0, v1 :: v_dual_add_nc_u32 v4, v69, v4
	v_cmp_gt_u32_e32 vcc_lo, s0, v38
	v_sub_nc_u32_e32 v70, v3, v70
	s_delay_alu instid0(VALU_DEP_3) | instskip(SKIP_2) | instid1(VALU_DEP_3)
	v_sub_nc_u32_e32 v71, v2, v71
	v_cndmask_b32_e32 v72, 0, v29, vcc_lo
	v_cmp_gt_u32_e32 vcc_lo, s0, v39
	v_dual_cndmask_b32 v73, 0, v28 :: v_dual_add_nc_u32 v2, v71, v2
	v_cmp_gt_u32_e32 vcc_lo, s0, v40
	s_delay_alu instid0(VALU_DEP_4) | instskip(NEXT) | instid1(VALU_DEP_3)
	v_sub_nc_u32_e32 v72, v1, v72
	v_sub_nc_u32_e32 v73, v29, v73
	v_cndmask_b32_e32 v74, 0, v27, vcc_lo
	v_cmp_gt_u32_e32 vcc_lo, s0, v41
	s_delay_alu instid0(VALU_DEP_3) | instskip(SKIP_3) | instid1(VALU_DEP_3)
	v_add_nc_u32_e32 v29, v73, v29
	v_cndmask_b32_e32 v75, 0, v14, vcc_lo
	v_cmp_gt_u32_e32 vcc_lo, s0, v42
	v_sub_nc_u32_e32 v74, v28, v74
	v_sub_nc_u32_e32 v75, v27, v75
	v_cndmask_b32_e32 v76, 0, v26, vcc_lo
	v_cmp_gt_u32_e32 vcc_lo, s0, v43
	s_delay_alu instid0(VALU_DEP_4) | instskip(NEXT) | instid1(VALU_DEP_4)
	v_add_nc_u32_e32 v28, v74, v28
	v_add_nc_u32_e32 v27, v75, v27
	v_cndmask_b32_e32 v77, 0, v7, vcc_lo
	v_cmp_gt_u32_e32 vcc_lo, s0, v44
	v_sub_nc_u32_e32 v76, v14, v76
	s_delay_alu instid0(VALU_DEP_3) | instskip(SKIP_2) | instid1(VALU_DEP_4)
	v_sub_nc_u32_e32 v77, v26, v77
	v_cndmask_b32_e32 v78, 0, v6, vcc_lo
	v_cmp_gt_u32_e32 vcc_lo, s0, v45
	v_add_nc_u32_e32 v14, v76, v14
	s_delay_alu instid0(VALU_DEP_4) | instskip(SKIP_2) | instid1(VALU_DEP_3)
	v_dual_cndmask_b32 v79, 0, v13 :: v_dual_add_nc_u32 v26, v77, v26
	v_cmp_gt_u32_e32 vcc_lo, s0, v46
	v_sub_nc_u32_e32 v78, v7, v78
	v_sub_nc_u32_e32 v79, v6, v79
	v_cndmask_b32_e32 v80, 0, v9, vcc_lo
	v_cmp_gt_u32_e32 vcc_lo, s0, v47
	s_delay_alu instid0(VALU_DEP_4) | instskip(NEXT) | instid1(VALU_DEP_4)
	v_add_nc_u32_e32 v7, v78, v7
	v_dual_cndmask_b32 v81, 0, v8 :: v_dual_add_nc_u32 v6, v79, v6
	v_cmp_gt_u32_e32 vcc_lo, s0, v48
	v_sub_nc_u32_e32 v80, v13, v80
	s_delay_alu instid0(VALU_DEP_3) | instskip(SKIP_2) | instid1(VALU_DEP_4)
	v_sub_nc_u32_e32 v81, v9, v81
	v_cndmask_b32_e32 v82, 0, v33, vcc_lo
	v_cmp_gt_u32_e32 vcc_lo, s0, v49
	v_add_nc_u32_e32 v13, v80, v13
	s_delay_alu instid0(VALU_DEP_4) | instskip(SKIP_3) | instid1(VALU_DEP_3)
	v_add_nc_u32_e32 v9, v81, v9
	v_cndmask_b32_e32 v83, 0, v12, vcc_lo
	v_cmp_gt_u32_e32 vcc_lo, s0, v50
	v_sub_nc_u32_e32 v82, v8, v82
	v_sub_nc_u32_e32 v83, v33, v83
	v_cndmask_b32_e32 v84, 0, v32, vcc_lo
	v_cmp_gt_u32_e32 vcc_lo, s0, v51
	s_delay_alu instid0(VALU_DEP_4) | instskip(NEXT) | instid1(VALU_DEP_4)
	v_add_nc_u32_e32 v8, v82, v8
	v_add_nc_u32_e32 v33, v83, v33
	v_cndmask_b32_e32 v85, 0, v31, vcc_lo
	v_cmp_gt_u32_e32 vcc_lo, s0, v52
	v_sub_nc_u32_e32 v84, v12, v84
	s_delay_alu instid0(VALU_DEP_3) | instskip(SKIP_2) | instid1(VALU_DEP_4)
	v_sub_nc_u32_e32 v85, v32, v85
	v_cndmask_b32_e32 v86, 0, v30, vcc_lo
	v_cmp_gt_u32_e32 vcc_lo, s0, v53
	v_add_nc_u32_e32 v12, v84, v12
	s_delay_alu instid0(VALU_DEP_4) | instskip(SKIP_2) | instid1(VALU_DEP_3)
	v_dual_cndmask_b32 v87, 0, v11 :: v_dual_add_nc_u32 v32, v85, v32
	v_cmp_gt_u32_e32 vcc_lo, s0, v54
	v_sub_nc_u32_e32 v86, v31, v86
	v_sub_nc_u32_e32 v87, v30, v87
	v_cndmask_b32_e32 v88, 0, v24, vcc_lo
	v_cmp_gt_u32_e32 vcc_lo, s0, v55
	s_delay_alu instid0(VALU_DEP_4) | instskip(NEXT) | instid1(VALU_DEP_4)
	v_add_nc_u32_e32 v31, v86, v31
	v_add_nc_u32_e32 v30, v87, v30
	s_delay_alu instid0(VALU_DEP_4) | instskip(SKIP_2) | instid1(VALU_DEP_3)
	v_sub_nc_u32_e32 v88, v11, v88
	v_cndmask_b32_e32 v68, 0, v23, vcc_lo
	v_cmp_gt_u32_e32 vcc_lo, s0, v56
	v_add_nc_u32_e32 v11, v88, v11
	v_cndmask_b32_e32 v69, 0, v22, vcc_lo
	v_cmp_gt_u32_e32 vcc_lo, s0, v57
	v_add_nc_u32_e32 v3, v70, v3
	v_sub_nc_u32_e32 v68, v24, v68
	s_delay_alu instid0(VALU_DEP_4) | instskip(SKIP_2) | instid1(VALU_DEP_4)
	v_sub_nc_u32_e32 v69, v23, v69
	v_cndmask_b32_e32 v70, 0, v10, vcc_lo
	v_cmp_gt_u32_e32 vcc_lo, s0, v58
	v_add_nc_u32_e32 v24, v68, v24
	s_delay_alu instid0(VALU_DEP_4) | instskip(NEXT) | instid1(VALU_DEP_4)
	v_add_nc_u32_e32 v23, v69, v23
	v_sub_nc_u32_e32 v70, v22, v70
	v_cndmask_b32_e32 v71, 0, v21, vcc_lo
	v_cmp_gt_u32_e32 vcc_lo, s0, v59
	v_add_nc_u32_e32 v1, v72, v1
	s_delay_alu instid0(VALU_DEP_4) | instskip(NEXT) | instid1(VALU_DEP_4)
	v_add_nc_u32_e32 v22, v70, v22
	v_sub_nc_u32_e32 v71, v10, v71
	v_cndmask_b32_e32 v72, 0, v20, vcc_lo
	v_cmp_gt_u32_e32 vcc_lo, s0, v60
	s_delay_alu instid0(VALU_DEP_3) | instskip(NEXT) | instid1(VALU_DEP_3)
	v_add_nc_u32_e32 v10, v71, v10
	v_sub_nc_u32_e32 v72, v21, v72
	v_cndmask_b32_e32 v73, 0, v19, vcc_lo
	v_cmp_gt_u32_e32 vcc_lo, s0, v61
	s_delay_alu instid0(VALU_DEP_3) | instskip(NEXT) | instid1(VALU_DEP_3)
	;; [unrolled: 5-line block ×4, first 2 shown]
	v_add_nc_u32_e32 v19, v74, v19
	v_sub_nc_u32_e32 v75, v18, v75
	v_cndmask_b32_e32 v76, 0, v16, vcc_lo
	v_cmp_gt_u32_e32 vcc_lo, s0, v64
	s_add_i32 s0, s1, s0
	s_delay_alu instid0(VALU_DEP_3) | instskip(NEXT) | instid1(VALU_DEP_3)
	v_add_nc_u32_e32 v18, v75, v18
	v_sub_nc_u32_e32 v76, v17, v76
	v_cndmask_b32_e32 v77, 0, v15, vcc_lo
	v_add_nc_u32_e32 v15, v67, v15
	s_and_b32 s0, s0, 0x1fff
	s_cmp_lg_u32 s4, 0
	v_add_nc_u32_e32 v17, v76, v17
	v_sub_nc_u32_e32 v77, v16, v77
	s_delay_alu instid0(VALU_DEP_1)
	v_add_nc_u32_e32 v16, v77, v16
	s_cbranch_scc0 .LBB215_4
.LBB215_2:                              ; =>This Inner Loop Header: Depth=1
	s_waitcnt vmcnt(0)
	v_mov_b32_e32 v67, v15
	s_mov_b32 s5, exec_lo
	ds_store_b32 v25, v5 offset:1024
	s_waitcnt lgkmcnt(0)
	s_barrier
	buffer_gl0_inv
	v_cmpx_gt_u32_e64 s0, v65
	s_cbranch_execz .LBB215_1
; %bb.3:                                ;   in Loop: Header=BB215_2 Depth=1
	ds_load_b32 v67, v66 offset:4
	s_waitcnt lgkmcnt(0)
	v_sub_nc_u32_e32 v67, v15, v67
	s_branch .LBB215_1
.LBB215_4:
	v_lshlrev_b32_e32 v0, 2, v0
	s_add_u32 s0, s8, s2
	s_addc_u32 s1, s9, s3
	s_delay_alu instid0(VALU_DEP_1) | instskip(NEXT) | instid1(VALU_DEP_1)
	v_add_co_u32 v40, s2, s0, v0
	v_add_co_ci_u32_e64 v41, null, s1, 0, s2
	s_delay_alu instid0(VALU_DEP_2) | instskip(NEXT) | instid1(VALU_DEP_2)
	v_add_co_u32 v34, vcc_lo, 0x1000, v40
	v_add_co_ci_u32_e32 v35, vcc_lo, 0, v41, vcc_lo
	v_add_co_u32 v36, vcc_lo, v40, 0x2000
	v_add_co_ci_u32_e32 v37, vcc_lo, 0, v41, vcc_lo
	;; [unrolled: 2-line block ×3, first 2 shown]
	s_clause 0x7
	global_store_b32 v0, v5, s[0:1]
	global_store_b32 v0, v4, s[0:1] offset:1024
	global_store_b32 v0, v3, s[0:1] offset:2048
	;; [unrolled: 1-line block ×3, first 2 shown]
	global_store_b32 v[34:35], v29, off offset:1024
	global_store_b32 v[34:35], v28, off offset:2048
	;; [unrolled: 1-line block ×4, first 2 shown]
	v_add_co_u32 v2, vcc_lo, 0x3000, v40
	v_add_co_ci_u32_e32 v3, vcc_lo, 0, v41, vcc_lo
	v_add_co_u32 v4, vcc_lo, v40, 0x4000
	v_add_co_ci_u32_e32 v5, vcc_lo, 0, v41, vcc_lo
	;; [unrolled: 2-line block ×3, first 2 shown]
	s_clause 0x7
	global_store_b32 v[38:39], v7, off offset:2048
	global_store_b32 v[38:39], v6, off offset:3072
	;; [unrolled: 1-line block ×8, first 2 shown]
	v_add_co_u32 v2, vcc_lo, 0x5000, v40
	v_add_co_ci_u32_e32 v3, vcc_lo, 0, v41, vcc_lo
	v_add_co_u32 v6, vcc_lo, v40, 0x6000
	v_add_co_ci_u32_e32 v7, vcc_lo, 0, v41, vcc_lo
	;; [unrolled: 2-line block ×3, first 2 shown]
	s_clause 0x4
	global_store_b32 v[36:37], v14, off
	global_store_b32 v[4:5], v13, off offset:-4096
	global_store_b32 v[4:5], v12, off
	global_store_b32 v[6:7], v11, off offset:-4096
	global_store_b32 v[6:7], v10, off
	v_add_co_u32 v4, vcc_lo, 0x7000, v40
	v_add_co_ci_u32_e32 v5, vcc_lo, 0, v41, vcc_lo
	s_clause 0xa
	global_store_b32 v[2:3], v24, off offset:1024
	global_store_b32 v[2:3], v23, off offset:2048
	;; [unrolled: 1-line block ×6, first 2 shown]
	global_store_b32 v[4:5], v18, off
	global_store_b32 v[4:5], v17, off offset:1024
	global_store_b32 v[4:5], v16, off offset:2048
	global_store_b32 v[36:37], v1, off offset:-4096
	global_store_b32 v[4:5], v15, off offset:3072
	s_nop 0
	s_sendmsg sendmsg(MSG_DEALLOC_VGPRS)
	s_endpgm
	.section	.rodata,"a",@progbits
	.p2align	6, 0x0
	.amdhsa_kernel _Z6kernelI27subtract_right_partial_tileLj256ELj32ELb1EJPiS1_S1_jEEvDpT3_
		.amdhsa_group_segment_fixed_size 2048
		.amdhsa_private_segment_fixed_size 0
		.amdhsa_kernarg_size 28
		.amdhsa_user_sgpr_count 15
		.amdhsa_user_sgpr_dispatch_ptr 0
		.amdhsa_user_sgpr_queue_ptr 0
		.amdhsa_user_sgpr_kernarg_segment_ptr 1
		.amdhsa_user_sgpr_dispatch_id 0
		.amdhsa_user_sgpr_private_segment_size 0
		.amdhsa_wavefront_size32 1
		.amdhsa_uses_dynamic_stack 0
		.amdhsa_enable_private_segment 0
		.amdhsa_system_sgpr_workgroup_id_x 1
		.amdhsa_system_sgpr_workgroup_id_y 0
		.amdhsa_system_sgpr_workgroup_id_z 0
		.amdhsa_system_sgpr_workgroup_info 0
		.amdhsa_system_vgpr_workitem_id 0
		.amdhsa_next_free_vgpr 89
		.amdhsa_next_free_sgpr 16
		.amdhsa_reserve_vcc 1
		.amdhsa_float_round_mode_32 0
		.amdhsa_float_round_mode_16_64 0
		.amdhsa_float_denorm_mode_32 3
		.amdhsa_float_denorm_mode_16_64 3
		.amdhsa_dx10_clamp 1
		.amdhsa_ieee_mode 1
		.amdhsa_fp16_overflow 0
		.amdhsa_workgroup_processor_mode 1
		.amdhsa_memory_ordered 1
		.amdhsa_forward_progress 0
		.amdhsa_shared_vgpr_count 0
		.amdhsa_exception_fp_ieee_invalid_op 0
		.amdhsa_exception_fp_denorm_src 0
		.amdhsa_exception_fp_ieee_div_zero 0
		.amdhsa_exception_fp_ieee_overflow 0
		.amdhsa_exception_fp_ieee_underflow 0
		.amdhsa_exception_fp_ieee_inexact 0
		.amdhsa_exception_int_div_zero 0
	.end_amdhsa_kernel
	.section	.text._Z6kernelI27subtract_right_partial_tileLj256ELj32ELb1EJPiS1_S1_jEEvDpT3_,"axG",@progbits,_Z6kernelI27subtract_right_partial_tileLj256ELj32ELb1EJPiS1_S1_jEEvDpT3_,comdat
.Lfunc_end215:
	.size	_Z6kernelI27subtract_right_partial_tileLj256ELj32ELb1EJPiS1_S1_jEEvDpT3_, .Lfunc_end215-_Z6kernelI27subtract_right_partial_tileLj256ELj32ELb1EJPiS1_S1_jEEvDpT3_
                                        ; -- End function
	.section	.AMDGPU.csdata,"",@progbits
; Kernel info:
; codeLenInByte = 1988
; NumSgprs: 18
; NumVgprs: 89
; ScratchSize: 0
; MemoryBound: 0
; FloatMode: 240
; IeeeMode: 1
; LDSByteSize: 2048 bytes/workgroup (compile time only)
; SGPRBlocks: 2
; VGPRBlocks: 11
; NumSGPRsForWavesPerEU: 18
; NumVGPRsForWavesPerEU: 89
; Occupancy: 16
; WaveLimiterHint : 1
; COMPUTE_PGM_RSRC2:SCRATCH_EN: 0
; COMPUTE_PGM_RSRC2:USER_SGPR: 15
; COMPUTE_PGM_RSRC2:TRAP_HANDLER: 0
; COMPUTE_PGM_RSRC2:TGID_X_EN: 1
; COMPUTE_PGM_RSRC2:TGID_Y_EN: 0
; COMPUTE_PGM_RSRC2:TGID_Z_EN: 0
; COMPUTE_PGM_RSRC2:TIDIG_COMP_CNT: 0
	.section	.text._Z6kernelI27subtract_right_partial_tileLj256ELj1ELb1EJPfPiS1_jEEvDpT3_,"axG",@progbits,_Z6kernelI27subtract_right_partial_tileLj256ELj1ELb1EJPfPiS1_jEEvDpT3_,comdat
	.protected	_Z6kernelI27subtract_right_partial_tileLj256ELj1ELb1EJPfPiS1_jEEvDpT3_ ; -- Begin function _Z6kernelI27subtract_right_partial_tileLj256ELj1ELb1EJPfPiS1_jEEvDpT3_
	.globl	_Z6kernelI27subtract_right_partial_tileLj256ELj1ELb1EJPfPiS1_jEEvDpT3_
	.p2align	8
	.type	_Z6kernelI27subtract_right_partial_tileLj256ELj1ELb1EJPfPiS1_jEEvDpT3_,@function
_Z6kernelI27subtract_right_partial_tileLj256ELj1ELb1EJPfPiS1_jEEvDpT3_: ; @_Z6kernelI27subtract_right_partial_tileLj256ELj1ELb1EJPfPiS1_jEEvDpT3_
; %bb.0:
	s_clause 0x1
	s_load_b128 s[8:11], s[0:1], 0x0
	s_load_b64 s[4:5], s[0:1], 0x10
	s_lshl_b32 s12, s15, 8
	s_mov_b32 s13, 0
	v_lshlrev_b32_e32 v2, 2, v0
	s_lshl_b64 s[2:3], s[12:13], 2
	s_mov_b32 s6, s15
	s_mov_b32 s7, s13
	s_waitcnt lgkmcnt(0)
	s_add_u32 s8, s8, s2
	s_addc_u32 s9, s9, s3
	global_load_b32 v1, v2, s[8:9]
	s_load_b32 s8, s[0:1], 0x18
	s_lshl_b64 s[0:1], s[6:7], 2
	s_delay_alu instid0(SALU_CYCLE_1)
	s_add_u32 s0, s10, s0
	s_addc_u32 s1, s11, s1
	s_load_b32 s0, s[0:1], 0x0
	s_waitcnt lgkmcnt(0)
	v_cvt_f32_u32_e32 v3, s8
	s_sub_i32 s7, 0, s8
	s_delay_alu instid0(VALU_DEP_1) | instskip(SKIP_3) | instid1(VALU_DEP_2)
	v_rcp_iflag_f32_e32 v3, v3
	s_waitcnt_depctr 0xfff
	v_mul_f32_e32 v3, 0x4f7ffffe, v3
	v_or_b32_e32 v4, 0x400, v2
	v_cvt_u32_f32_e32 v3, v3
	s_delay_alu instid0(VALU_DEP_1) | instskip(SKIP_1) | instid1(VALU_DEP_2)
	v_readfirstlane_b32 s6, v3
	v_add_nc_u32_e32 v3, 1, v0
	s_mul_i32 s7, s7, s6
	s_delay_alu instid0(SALU_CYCLE_1) | instskip(NEXT) | instid1(SALU_CYCLE_1)
	s_mul_hi_u32 s7, s6, s7
	s_add_i32 s6, s6, s7
	s_delay_alu instid0(SALU_CYCLE_1) | instskip(NEXT) | instid1(SALU_CYCLE_1)
	s_lshr_b32 s6, s6, 24
	s_mul_i32 s1, s6, s8
	s_add_i32 s7, s6, 1
	s_sub_i32 s1, 0x100, s1
	s_delay_alu instid0(SALU_CYCLE_1)
	s_sub_i32 s9, s1, s8
	s_cmp_ge_u32 s1, s8
	s_cselect_b32 s6, s7, s6
	s_cselect_b32 s1, s9, s1
	s_add_i32 s7, s6, 1
	s_cmp_ge_u32 s1, s8
	s_cselect_b32 s1, s7, s6
	s_max_u32 s6, s8, 1
	s_add_i32 s1, s1, 1
	s_branch .LBB216_2
	.p2align	6
.LBB216_1:                              ;   in Loop: Header=BB216_2 Depth=1
	s_or_b32 exec_lo, exec_lo, s7
	s_add_i32 s0, s1, s0
	s_delay_alu instid0(VALU_DEP_1)
	v_add_f32_e32 v1, v1, v5
	s_add_i32 s6, s6, -1
	s_and_b32 s0, s0, 0xff
	s_cmp_lg_u32 s6, 0
	s_barrier
	buffer_gl0_inv
	s_cbranch_scc0 .LBB216_4
.LBB216_2:                              ; =>This Inner Loop Header: Depth=1
	s_waitcnt vmcnt(0)
	v_mov_b32_e32 v5, v1
	s_mov_b32 s7, exec_lo
	ds_store_b32 v2, v1 offset:1024
	s_waitcnt lgkmcnt(0)
	s_barrier
	buffer_gl0_inv
	v_cmpx_gt_u32_e64 s0, v3
	s_cbranch_execz .LBB216_1
; %bb.3:                                ;   in Loop: Header=BB216_2 Depth=1
	ds_load_b32 v5, v4 offset:4
	s_waitcnt lgkmcnt(0)
	v_sub_f32_e32 v5, v1, v5
	s_branch .LBB216_1
.LBB216_4:
	v_lshlrev_b32_e32 v0, 2, v0
	s_add_u32 s0, s4, s2
	s_addc_u32 s1, s5, s3
	global_store_b32 v0, v1, s[0:1]
	s_nop 0
	s_sendmsg sendmsg(MSG_DEALLOC_VGPRS)
	s_endpgm
	.section	.rodata,"a",@progbits
	.p2align	6, 0x0
	.amdhsa_kernel _Z6kernelI27subtract_right_partial_tileLj256ELj1ELb1EJPfPiS1_jEEvDpT3_
		.amdhsa_group_segment_fixed_size 2048
		.amdhsa_private_segment_fixed_size 0
		.amdhsa_kernarg_size 28
		.amdhsa_user_sgpr_count 15
		.amdhsa_user_sgpr_dispatch_ptr 0
		.amdhsa_user_sgpr_queue_ptr 0
		.amdhsa_user_sgpr_kernarg_segment_ptr 1
		.amdhsa_user_sgpr_dispatch_id 0
		.amdhsa_user_sgpr_private_segment_size 0
		.amdhsa_wavefront_size32 1
		.amdhsa_uses_dynamic_stack 0
		.amdhsa_enable_private_segment 0
		.amdhsa_system_sgpr_workgroup_id_x 1
		.amdhsa_system_sgpr_workgroup_id_y 0
		.amdhsa_system_sgpr_workgroup_id_z 0
		.amdhsa_system_sgpr_workgroup_info 0
		.amdhsa_system_vgpr_workitem_id 0
		.amdhsa_next_free_vgpr 6
		.amdhsa_next_free_sgpr 16
		.amdhsa_reserve_vcc 0
		.amdhsa_float_round_mode_32 0
		.amdhsa_float_round_mode_16_64 0
		.amdhsa_float_denorm_mode_32 3
		.amdhsa_float_denorm_mode_16_64 3
		.amdhsa_dx10_clamp 1
		.amdhsa_ieee_mode 1
		.amdhsa_fp16_overflow 0
		.amdhsa_workgroup_processor_mode 1
		.amdhsa_memory_ordered 1
		.amdhsa_forward_progress 0
		.amdhsa_shared_vgpr_count 0
		.amdhsa_exception_fp_ieee_invalid_op 0
		.amdhsa_exception_fp_denorm_src 0
		.amdhsa_exception_fp_ieee_div_zero 0
		.amdhsa_exception_fp_ieee_overflow 0
		.amdhsa_exception_fp_ieee_underflow 0
		.amdhsa_exception_fp_ieee_inexact 0
		.amdhsa_exception_int_div_zero 0
	.end_amdhsa_kernel
	.section	.text._Z6kernelI27subtract_right_partial_tileLj256ELj1ELb1EJPfPiS1_jEEvDpT3_,"axG",@progbits,_Z6kernelI27subtract_right_partial_tileLj256ELj1ELb1EJPfPiS1_jEEvDpT3_,comdat
.Lfunc_end216:
	.size	_Z6kernelI27subtract_right_partial_tileLj256ELj1ELb1EJPfPiS1_jEEvDpT3_, .Lfunc_end216-_Z6kernelI27subtract_right_partial_tileLj256ELj1ELb1EJPfPiS1_jEEvDpT3_
                                        ; -- End function
	.section	.AMDGPU.csdata,"",@progbits
; Kernel info:
; codeLenInByte = 384
; NumSgprs: 16
; NumVgprs: 6
; ScratchSize: 0
; MemoryBound: 0
; FloatMode: 240
; IeeeMode: 1
; LDSByteSize: 2048 bytes/workgroup (compile time only)
; SGPRBlocks: 1
; VGPRBlocks: 0
; NumSGPRsForWavesPerEU: 16
; NumVGPRsForWavesPerEU: 6
; Occupancy: 16
; WaveLimiterHint : 0
; COMPUTE_PGM_RSRC2:SCRATCH_EN: 0
; COMPUTE_PGM_RSRC2:USER_SGPR: 15
; COMPUTE_PGM_RSRC2:TRAP_HANDLER: 0
; COMPUTE_PGM_RSRC2:TGID_X_EN: 1
; COMPUTE_PGM_RSRC2:TGID_Y_EN: 0
; COMPUTE_PGM_RSRC2:TGID_Z_EN: 0
; COMPUTE_PGM_RSRC2:TIDIG_COMP_CNT: 0
	.section	.text._Z6kernelI27subtract_right_partial_tileLj256ELj3ELb1EJPfPiS1_jEEvDpT3_,"axG",@progbits,_Z6kernelI27subtract_right_partial_tileLj256ELj3ELb1EJPfPiS1_jEEvDpT3_,comdat
	.protected	_Z6kernelI27subtract_right_partial_tileLj256ELj3ELb1EJPfPiS1_jEEvDpT3_ ; -- Begin function _Z6kernelI27subtract_right_partial_tileLj256ELj3ELb1EJPfPiS1_jEEvDpT3_
	.globl	_Z6kernelI27subtract_right_partial_tileLj256ELj3ELb1EJPfPiS1_jEEvDpT3_
	.p2align	8
	.type	_Z6kernelI27subtract_right_partial_tileLj256ELj3ELb1EJPfPiS1_jEEvDpT3_,@function
_Z6kernelI27subtract_right_partial_tileLj256ELj3ELb1EJPfPiS1_jEEvDpT3_: ; @_Z6kernelI27subtract_right_partial_tileLj256ELj3ELb1EJPfPiS1_jEEvDpT3_
; %bb.0:
	s_clause 0x1
	s_load_b128 s[8:11], s[0:1], 0x0
	s_load_b64 s[4:5], s[0:1], 0x10
	s_mov_b32 s13, 0
	s_mul_i32 s12, s15, 0x300
	v_lshlrev_b32_e32 v4, 2, v0
	s_lshl_b64 s[2:3], s[12:13], 2
	s_mov_b32 s6, s15
	s_mov_b32 s7, s13
	v_mad_u32_u24 v6, v0, 3, 2
	v_mad_u32_u24 v7, v0, 3, 3
	s_waitcnt lgkmcnt(0)
	s_add_u32 s8, s8, s2
	s_addc_u32 s9, s9, s3
	s_clause 0x2
	global_load_b32 v1, v4, s[8:9]
	global_load_b32 v2, v4, s[8:9] offset:1024
	global_load_b32 v3, v4, s[8:9] offset:2048
	s_load_b32 s8, s[0:1], 0x18
	s_lshl_b64 s[0:1], s[6:7], 2
	s_delay_alu instid0(SALU_CYCLE_1)
	s_add_u32 s0, s10, s0
	s_addc_u32 s1, s11, s1
	s_load_b32 s0, s[0:1], 0x0
	s_waitcnt lgkmcnt(0)
	v_cvt_f32_u32_e32 v5, s8
	s_sub_i32 s7, 0, s8
	s_delay_alu instid0(VALU_DEP_1) | instskip(SKIP_3) | instid1(VALU_DEP_2)
	v_rcp_iflag_f32_e32 v5, v5
	s_waitcnt_depctr 0xfff
	v_mul_f32_e32 v5, 0x4f7ffffe, v5
	v_or_b32_e32 v8, 0x400, v4
	v_cvt_u32_f32_e32 v5, v5
	s_delay_alu instid0(VALU_DEP_1) | instskip(SKIP_1) | instid1(VALU_DEP_2)
	v_readfirstlane_b32 s6, v5
	v_mad_u32_u24 v5, v0, 3, 1
	s_mul_i32 s7, s7, s6
	s_delay_alu instid0(SALU_CYCLE_1) | instskip(NEXT) | instid1(SALU_CYCLE_1)
	s_mul_hi_u32 s7, s6, s7
	s_add_i32 s6, s6, s7
	s_delay_alu instid0(SALU_CYCLE_1) | instskip(NEXT) | instid1(SALU_CYCLE_1)
	s_mul_hi_u32 s6, s6, 0x300
	s_mul_i32 s7, s6, s8
	s_delay_alu instid0(SALU_CYCLE_1)
	s_sub_i32 s1, 0x300, s7
	s_add_i32 s7, s6, 1
	s_sub_i32 s9, s1, s8
	s_cmp_ge_u32 s1, s8
	s_cselect_b32 s6, s7, s6
	s_cselect_b32 s1, s9, s1
	s_add_i32 s7, s6, 1
	s_cmp_ge_u32 s1, s8
	s_cselect_b32 s1, s7, s6
	s_max_u32 s6, s8, 1
	s_add_i32 s1, s1, 1
	s_set_inst_prefetch_distance 0x1
	s_branch .LBB217_2
	.p2align	6
.LBB217_1:                              ;   in Loop: Header=BB217_2 Depth=1
	s_or_b32 exec_lo, exec_lo, s7
	s_add_i32 s0, s1, s0
	v_dual_add_f32 v1, v1, v9 :: v_dual_add_f32 v2, v2, v10
	s_mul_hi_u32 s7, s0, 0xaaaaaaab
	v_add_f32_e32 v3, v3, v11
	s_lshr_b32 s7, s7, 9
	s_add_i32 s6, s6, -1
	s_mulk_i32 s7, 0x300
	s_delay_alu instid0(SALU_CYCLE_1)
	s_sub_i32 s0, s0, s7
	s_cmp_lg_u32 s6, 0
	s_barrier
	buffer_gl0_inv
	s_cbranch_scc0 .LBB217_4
.LBB217_2:                              ; =>This Inner Loop Header: Depth=1
	s_waitcnt vmcnt(0)
	v_dual_sub_f32 v9, v1, v2 :: v_dual_sub_f32 v10, v2, v3
	v_cmp_gt_u32_e32 vcc_lo, s0, v5
	v_mov_b32_e32 v11, v3
	s_mov_b32 s7, exec_lo
	ds_store_b32 v4, v1 offset:1024
	s_waitcnt lgkmcnt(0)
	v_cndmask_b32_e32 v9, v1, v9, vcc_lo
	v_cmp_gt_u32_e32 vcc_lo, s0, v6
	s_barrier
	buffer_gl0_inv
	v_cndmask_b32_e32 v10, v2, v10, vcc_lo
	v_cmpx_gt_u32_e64 s0, v7
	s_cbranch_execz .LBB217_1
; %bb.3:                                ;   in Loop: Header=BB217_2 Depth=1
	ds_load_b32 v11, v8 offset:4
	s_waitcnt lgkmcnt(0)
	v_sub_f32_e32 v11, v3, v11
	s_branch .LBB217_1
.LBB217_4:
	s_set_inst_prefetch_distance 0x2
	v_lshlrev_b32_e32 v0, 2, v0
	s_add_u32 s0, s4, s2
	s_addc_u32 s1, s5, s3
	s_clause 0x2
	global_store_b32 v0, v1, s[0:1]
	global_store_b32 v0, v2, s[0:1] offset:1024
	global_store_b32 v0, v3, s[0:1] offset:2048
	s_nop 0
	s_sendmsg sendmsg(MSG_DEALLOC_VGPRS)
	s_endpgm
	.section	.rodata,"a",@progbits
	.p2align	6, 0x0
	.amdhsa_kernel _Z6kernelI27subtract_right_partial_tileLj256ELj3ELb1EJPfPiS1_jEEvDpT3_
		.amdhsa_group_segment_fixed_size 2048
		.amdhsa_private_segment_fixed_size 0
		.amdhsa_kernarg_size 28
		.amdhsa_user_sgpr_count 15
		.amdhsa_user_sgpr_dispatch_ptr 0
		.amdhsa_user_sgpr_queue_ptr 0
		.amdhsa_user_sgpr_kernarg_segment_ptr 1
		.amdhsa_user_sgpr_dispatch_id 0
		.amdhsa_user_sgpr_private_segment_size 0
		.amdhsa_wavefront_size32 1
		.amdhsa_uses_dynamic_stack 0
		.amdhsa_enable_private_segment 0
		.amdhsa_system_sgpr_workgroup_id_x 1
		.amdhsa_system_sgpr_workgroup_id_y 0
		.amdhsa_system_sgpr_workgroup_id_z 0
		.amdhsa_system_sgpr_workgroup_info 0
		.amdhsa_system_vgpr_workitem_id 0
		.amdhsa_next_free_vgpr 12
		.amdhsa_next_free_sgpr 16
		.amdhsa_reserve_vcc 1
		.amdhsa_float_round_mode_32 0
		.amdhsa_float_round_mode_16_64 0
		.amdhsa_float_denorm_mode_32 3
		.amdhsa_float_denorm_mode_16_64 3
		.amdhsa_dx10_clamp 1
		.amdhsa_ieee_mode 1
		.amdhsa_fp16_overflow 0
		.amdhsa_workgroup_processor_mode 1
		.amdhsa_memory_ordered 1
		.amdhsa_forward_progress 0
		.amdhsa_shared_vgpr_count 0
		.amdhsa_exception_fp_ieee_invalid_op 0
		.amdhsa_exception_fp_denorm_src 0
		.amdhsa_exception_fp_ieee_div_zero 0
		.amdhsa_exception_fp_ieee_overflow 0
		.amdhsa_exception_fp_ieee_underflow 0
		.amdhsa_exception_fp_ieee_inexact 0
		.amdhsa_exception_int_div_zero 0
	.end_amdhsa_kernel
	.section	.text._Z6kernelI27subtract_right_partial_tileLj256ELj3ELb1EJPfPiS1_jEEvDpT3_,"axG",@progbits,_Z6kernelI27subtract_right_partial_tileLj256ELj3ELb1EJPfPiS1_jEEvDpT3_,comdat
.Lfunc_end217:
	.size	_Z6kernelI27subtract_right_partial_tileLj256ELj3ELb1EJPfPiS1_jEEvDpT3_, .Lfunc_end217-_Z6kernelI27subtract_right_partial_tileLj256ELj3ELb1EJPfPiS1_jEEvDpT3_
                                        ; -- End function
	.section	.AMDGPU.csdata,"",@progbits
; Kernel info:
; codeLenInByte = 504
; NumSgprs: 18
; NumVgprs: 12
; ScratchSize: 0
; MemoryBound: 0
; FloatMode: 240
; IeeeMode: 1
; LDSByteSize: 2048 bytes/workgroup (compile time only)
; SGPRBlocks: 2
; VGPRBlocks: 1
; NumSGPRsForWavesPerEU: 18
; NumVGPRsForWavesPerEU: 12
; Occupancy: 16
; WaveLimiterHint : 1
; COMPUTE_PGM_RSRC2:SCRATCH_EN: 0
; COMPUTE_PGM_RSRC2:USER_SGPR: 15
; COMPUTE_PGM_RSRC2:TRAP_HANDLER: 0
; COMPUTE_PGM_RSRC2:TGID_X_EN: 1
; COMPUTE_PGM_RSRC2:TGID_Y_EN: 0
; COMPUTE_PGM_RSRC2:TGID_Z_EN: 0
; COMPUTE_PGM_RSRC2:TIDIG_COMP_CNT: 0
	.section	.text._Z6kernelI27subtract_right_partial_tileLj256ELj4ELb1EJPfPiS1_jEEvDpT3_,"axG",@progbits,_Z6kernelI27subtract_right_partial_tileLj256ELj4ELb1EJPfPiS1_jEEvDpT3_,comdat
	.protected	_Z6kernelI27subtract_right_partial_tileLj256ELj4ELb1EJPfPiS1_jEEvDpT3_ ; -- Begin function _Z6kernelI27subtract_right_partial_tileLj256ELj4ELb1EJPfPiS1_jEEvDpT3_
	.globl	_Z6kernelI27subtract_right_partial_tileLj256ELj4ELb1EJPfPiS1_jEEvDpT3_
	.p2align	8
	.type	_Z6kernelI27subtract_right_partial_tileLj256ELj4ELb1EJPfPiS1_jEEvDpT3_,@function
_Z6kernelI27subtract_right_partial_tileLj256ELj4ELb1EJPfPiS1_jEEvDpT3_: ; @_Z6kernelI27subtract_right_partial_tileLj256ELj4ELb1EJPfPiS1_jEEvDpT3_
; %bb.0:
	s_clause 0x1
	s_load_b128 s[8:11], s[0:1], 0x0
	s_load_b64 s[4:5], s[0:1], 0x10
	s_mov_b32 s13, 0
	s_lshl_b32 s12, s15, 10
	v_lshlrev_b32_e32 v5, 2, v0
	s_lshl_b64 s[2:3], s[12:13], 2
	s_mov_b32 s6, s15
	s_mov_b32 s7, s13
	s_waitcnt lgkmcnt(0)
	s_add_u32 s8, s8, s2
	s_addc_u32 s9, s9, s3
	s_clause 0x3
	global_load_b32 v1, v5, s[8:9]
	global_load_b32 v2, v5, s[8:9] offset:1024
	global_load_b32 v3, v5, s[8:9] offset:2048
	;; [unrolled: 1-line block ×3, first 2 shown]
	s_load_b32 s8, s[0:1], 0x18
	s_lshl_b64 s[0:1], s[6:7], 2
	s_delay_alu instid0(SALU_CYCLE_1)
	s_add_u32 s0, s10, s0
	s_addc_u32 s1, s11, s1
	s_load_b32 s0, s[0:1], 0x0
	s_waitcnt lgkmcnt(0)
	v_cvt_f32_u32_e32 v6, s8
	s_sub_i32 s7, 0, s8
	s_delay_alu instid0(VALU_DEP_1)
	v_rcp_iflag_f32_e32 v6, v6
	s_waitcnt_depctr 0xfff
	v_mul_f32_e32 v6, 0x4f7ffffe, v6
	v_or_b32_e32 v7, 2, v5
	v_or_b32_e32 v8, 3, v5
	v_add_nc_u32_e32 v9, 4, v5
	v_or_b32_e32 v10, 0x400, v5
	v_cvt_u32_f32_e32 v6, v6
	s_delay_alu instid0(VALU_DEP_1) | instskip(SKIP_1) | instid1(VALU_DEP_2)
	v_readfirstlane_b32 s6, v6
	v_or_b32_e32 v6, 1, v5
	s_mul_i32 s7, s7, s6
	s_delay_alu instid0(SALU_CYCLE_1) | instskip(NEXT) | instid1(SALU_CYCLE_1)
	s_mul_hi_u32 s7, s6, s7
	s_add_i32 s6, s6, s7
	s_delay_alu instid0(SALU_CYCLE_1) | instskip(NEXT) | instid1(SALU_CYCLE_1)
	s_lshr_b32 s6, s6, 22
	s_mul_i32 s7, s6, s8
	s_delay_alu instid0(SALU_CYCLE_1)
	s_sub_i32 s1, 0x400, s7
	s_add_i32 s7, s6, 1
	s_sub_i32 s9, s1, s8
	s_cmp_ge_u32 s1, s8
	s_cselect_b32 s6, s7, s6
	s_cselect_b32 s1, s9, s1
	s_add_i32 s7, s6, 1
	s_cmp_ge_u32 s1, s8
	s_cselect_b32 s1, s7, s6
	s_max_u32 s6, s8, 1
	s_add_i32 s1, s1, 1
	s_set_inst_prefetch_distance 0x1
	s_branch .LBB218_2
	.p2align	6
.LBB218_1:                              ;   in Loop: Header=BB218_2 Depth=1
	s_or_b32 exec_lo, exec_lo, s7
	v_dual_add_f32 v1, v1, v11 :: v_dual_add_f32 v2, v2, v12
	s_delay_alu instid0(VALU_DEP_2)
	v_dual_add_f32 v3, v3, v13 :: v_dual_add_f32 v4, v4, v14
	s_add_i32 s0, s1, s0
	s_add_i32 s6, s6, -1
	s_and_b32 s0, s0, 0x3ff
	s_cmp_lg_u32 s6, 0
	s_barrier
	buffer_gl0_inv
	s_cbranch_scc0 .LBB218_4
.LBB218_2:                              ; =>This Inner Loop Header: Depth=1
	s_waitcnt vmcnt(1)
	v_dual_sub_f32 v11, v1, v2 :: v_dual_sub_f32 v12, v2, v3
	v_cmp_gt_u32_e32 vcc_lo, s0, v6
	s_waitcnt vmcnt(0)
	v_dual_sub_f32 v13, v3, v4 :: v_dual_mov_b32 v14, v4
	s_mov_b32 s7, exec_lo
	ds_store_b32 v5, v1 offset:1024
	v_cndmask_b32_e32 v11, v1, v11, vcc_lo
	v_cmp_gt_u32_e32 vcc_lo, s0, v7
	s_waitcnt lgkmcnt(0)
	s_barrier
	buffer_gl0_inv
	v_cndmask_b32_e32 v12, v2, v12, vcc_lo
	v_cmp_gt_u32_e32 vcc_lo, s0, v8
	v_cndmask_b32_e32 v13, v3, v13, vcc_lo
	v_cmpx_gt_u32_e64 s0, v9
	s_cbranch_execz .LBB218_1
; %bb.3:                                ;   in Loop: Header=BB218_2 Depth=1
	ds_load_b32 v14, v10 offset:4
	s_waitcnt lgkmcnt(0)
	v_sub_f32_e32 v14, v4, v14
	s_branch .LBB218_1
.LBB218_4:
	s_set_inst_prefetch_distance 0x2
	v_lshlrev_b32_e32 v0, 2, v0
	s_add_u32 s0, s4, s2
	s_addc_u32 s1, s5, s3
	s_clause 0x3
	global_store_b32 v0, v1, s[0:1]
	global_store_b32 v0, v2, s[0:1] offset:1024
	global_store_b32 v0, v3, s[0:1] offset:2048
	;; [unrolled: 1-line block ×3, first 2 shown]
	s_nop 0
	s_sendmsg sendmsg(MSG_DEALLOC_VGPRS)
	s_endpgm
	.section	.rodata,"a",@progbits
	.p2align	6, 0x0
	.amdhsa_kernel _Z6kernelI27subtract_right_partial_tileLj256ELj4ELb1EJPfPiS1_jEEvDpT3_
		.amdhsa_group_segment_fixed_size 2048
		.amdhsa_private_segment_fixed_size 0
		.amdhsa_kernarg_size 28
		.amdhsa_user_sgpr_count 15
		.amdhsa_user_sgpr_dispatch_ptr 0
		.amdhsa_user_sgpr_queue_ptr 0
		.amdhsa_user_sgpr_kernarg_segment_ptr 1
		.amdhsa_user_sgpr_dispatch_id 0
		.amdhsa_user_sgpr_private_segment_size 0
		.amdhsa_wavefront_size32 1
		.amdhsa_uses_dynamic_stack 0
		.amdhsa_enable_private_segment 0
		.amdhsa_system_sgpr_workgroup_id_x 1
		.amdhsa_system_sgpr_workgroup_id_y 0
		.amdhsa_system_sgpr_workgroup_id_z 0
		.amdhsa_system_sgpr_workgroup_info 0
		.amdhsa_system_vgpr_workitem_id 0
		.amdhsa_next_free_vgpr 15
		.amdhsa_next_free_sgpr 16
		.amdhsa_reserve_vcc 1
		.amdhsa_float_round_mode_32 0
		.amdhsa_float_round_mode_16_64 0
		.amdhsa_float_denorm_mode_32 3
		.amdhsa_float_denorm_mode_16_64 3
		.amdhsa_dx10_clamp 1
		.amdhsa_ieee_mode 1
		.amdhsa_fp16_overflow 0
		.amdhsa_workgroup_processor_mode 1
		.amdhsa_memory_ordered 1
		.amdhsa_forward_progress 0
		.amdhsa_shared_vgpr_count 0
		.amdhsa_exception_fp_ieee_invalid_op 0
		.amdhsa_exception_fp_denorm_src 0
		.amdhsa_exception_fp_ieee_div_zero 0
		.amdhsa_exception_fp_ieee_overflow 0
		.amdhsa_exception_fp_ieee_underflow 0
		.amdhsa_exception_fp_ieee_inexact 0
		.amdhsa_exception_int_div_zero 0
	.end_amdhsa_kernel
	.section	.text._Z6kernelI27subtract_right_partial_tileLj256ELj4ELb1EJPfPiS1_jEEvDpT3_,"axG",@progbits,_Z6kernelI27subtract_right_partial_tileLj256ELj4ELb1EJPfPiS1_jEEvDpT3_,comdat
.Lfunc_end218:
	.size	_Z6kernelI27subtract_right_partial_tileLj256ELj4ELb1EJPfPiS1_jEEvDpT3_, .Lfunc_end218-_Z6kernelI27subtract_right_partial_tileLj256ELj4ELb1EJPfPiS1_jEEvDpT3_
                                        ; -- End function
	.section	.AMDGPU.csdata,"",@progbits
; Kernel info:
; codeLenInByte = 512
; NumSgprs: 18
; NumVgprs: 15
; ScratchSize: 0
; MemoryBound: 0
; FloatMode: 240
; IeeeMode: 1
; LDSByteSize: 2048 bytes/workgroup (compile time only)
; SGPRBlocks: 2
; VGPRBlocks: 1
; NumSGPRsForWavesPerEU: 18
; NumVGPRsForWavesPerEU: 15
; Occupancy: 16
; WaveLimiterHint : 1
; COMPUTE_PGM_RSRC2:SCRATCH_EN: 0
; COMPUTE_PGM_RSRC2:USER_SGPR: 15
; COMPUTE_PGM_RSRC2:TRAP_HANDLER: 0
; COMPUTE_PGM_RSRC2:TGID_X_EN: 1
; COMPUTE_PGM_RSRC2:TGID_Y_EN: 0
; COMPUTE_PGM_RSRC2:TGID_Z_EN: 0
; COMPUTE_PGM_RSRC2:TIDIG_COMP_CNT: 0
	.section	.text._Z6kernelI27subtract_right_partial_tileLj256ELj8ELb1EJPfPiS1_jEEvDpT3_,"axG",@progbits,_Z6kernelI27subtract_right_partial_tileLj256ELj8ELb1EJPfPiS1_jEEvDpT3_,comdat
	.protected	_Z6kernelI27subtract_right_partial_tileLj256ELj8ELb1EJPfPiS1_jEEvDpT3_ ; -- Begin function _Z6kernelI27subtract_right_partial_tileLj256ELj8ELb1EJPfPiS1_jEEvDpT3_
	.globl	_Z6kernelI27subtract_right_partial_tileLj256ELj8ELb1EJPfPiS1_jEEvDpT3_
	.p2align	8
	.type	_Z6kernelI27subtract_right_partial_tileLj256ELj8ELb1EJPfPiS1_jEEvDpT3_,@function
_Z6kernelI27subtract_right_partial_tileLj256ELj8ELb1EJPfPiS1_jEEvDpT3_: ; @_Z6kernelI27subtract_right_partial_tileLj256ELj8ELb1EJPfPiS1_jEEvDpT3_
; %bb.0:
	s_clause 0x1
	s_load_b128 s[4:7], s[0:1], 0x0
	s_load_b64 s[8:9], s[0:1], 0x10
	s_mov_b32 s13, 0
	s_lshl_b32 s12, s15, 11
	v_lshlrev_b32_e32 v9, 2, v0
	s_lshl_b64 s[2:3], s[12:13], 2
	s_mov_b32 s10, s15
	v_lshlrev_b32_e32 v17, 3, v0
	s_delay_alu instid0(VALU_DEP_1)
	v_or_b32_e32 v12, 3, v17
	v_or_b32_e32 v13, 4, v17
	v_or_b32_e32 v14, 5, v17
	v_or_b32_e32 v15, 6, v17
	v_or_b32_e32 v16, 7, v17
	s_waitcnt lgkmcnt(0)
	s_add_u32 s4, s4, s2
	s_addc_u32 s5, s5, s3
	v_add_co_u32 v1, s11, s4, v9
	s_delay_alu instid0(VALU_DEP_1) | instskip(SKIP_1) | instid1(VALU_DEP_2)
	v_add_co_ci_u32_e64 v2, null, s5, 0, s11
	s_mov_b32 s11, s13
	v_add_co_u32 v10, vcc_lo, 0x1000, v1
	s_delay_alu instid0(VALU_DEP_2)
	v_add_co_ci_u32_e32 v11, vcc_lo, 0, v2, vcc_lo
	s_clause 0x7
	global_load_b32 v1, v9, s[4:5]
	global_load_b32 v2, v9, s[4:5] offset:1024
	global_load_b32 v3, v9, s[4:5] offset:2048
	;; [unrolled: 1-line block ×3, first 2 shown]
	global_load_b32 v5, v[10:11], off
	global_load_b32 v6, v[10:11], off offset:1024
	global_load_b32 v7, v[10:11], off offset:2048
	;; [unrolled: 1-line block ×3, first 2 shown]
	s_load_b32 s4, s[0:1], 0x18
	s_lshl_b64 s[0:1], s[10:11], 2
	v_or_b32_e32 v11, 2, v17
	s_add_u32 s0, s6, s0
	s_addc_u32 s1, s7, s1
	s_load_b32 s0, s[0:1], 0x0
	s_waitcnt lgkmcnt(0)
	v_cvt_f32_u32_e32 v10, s4
	s_sub_i32 s6, 0, s4
	s_delay_alu instid0(VALU_DEP_1) | instskip(SKIP_3) | instid1(VALU_DEP_2)
	v_rcp_iflag_f32_e32 v10, v10
	s_waitcnt_depctr 0xfff
	v_mul_f32_e32 v10, 0x4f7ffffe, v10
	v_or_b32_e32 v18, 0x400, v9
	v_cvt_u32_f32_e32 v10, v10
	s_delay_alu instid0(VALU_DEP_1) | instskip(SKIP_2) | instid1(VALU_DEP_3)
	v_readfirstlane_b32 s5, v10
	v_or_b32_e32 v10, 1, v17
	v_add_nc_u32_e32 v17, 8, v17
	s_mul_i32 s6, s6, s5
	s_delay_alu instid0(SALU_CYCLE_1) | instskip(NEXT) | instid1(SALU_CYCLE_1)
	s_mul_hi_u32 s6, s5, s6
	s_add_i32 s5, s5, s6
	s_delay_alu instid0(SALU_CYCLE_1) | instskip(NEXT) | instid1(SALU_CYCLE_1)
	s_lshr_b32 s5, s5, 21
	s_mul_i32 s6, s5, s4
	s_add_i32 s7, s5, 1
	s_sub_i32 s6, 0x800, s6
	s_delay_alu instid0(SALU_CYCLE_1)
	s_sub_i32 s10, s6, s4
	s_cmp_ge_u32 s6, s4
	s_cselect_b32 s1, s7, s5
	s_cselect_b32 s5, s10, s6
	s_add_i32 s6, s1, 1
	s_cmp_ge_u32 s5, s4
	s_cselect_b32 s1, s6, s1
	s_max_u32 s4, s4, 1
	s_add_i32 s1, s1, 1
	s_branch .LBB219_2
.LBB219_1:                              ;   in Loop: Header=BB219_2 Depth=1
	s_or_b32 exec_lo, exec_lo, s5
	v_dual_sub_f32 v20, v1, v2 :: v_dual_sub_f32 v21, v2, v3
	v_cmp_gt_u32_e32 vcc_lo, s0, v10
	v_dual_sub_f32 v24, v5, v6 :: v_dual_sub_f32 v25, v6, v7
	v_sub_f32_e32 v23, v4, v5
	s_add_i32 s4, s4, -1
	v_cndmask_b32_e32 v20, v1, v20, vcc_lo
	v_cmp_gt_u32_e32 vcc_lo, s0, v11
	v_sub_f32_e32 v22, v3, v4
	s_barrier
	buffer_gl0_inv
	v_cndmask_b32_e32 v21, v2, v21, vcc_lo
	v_cmp_gt_u32_e32 vcc_lo, s0, v12
	v_dual_add_f32 v1, v1, v20 :: v_dual_cndmask_b32 v22, v3, v22
	v_cmp_gt_u32_e32 vcc_lo, s0, v13
	v_cndmask_b32_e32 v23, v4, v23, vcc_lo
	v_cmp_gt_u32_e32 vcc_lo, s0, v14
	s_delay_alu instid0(VALU_DEP_4) | instskip(SKIP_3) | instid1(VALU_DEP_4)
	v_dual_add_f32 v3, v3, v22 :: v_dual_cndmask_b32 v24, v5, v24
	v_cmp_gt_u32_e32 vcc_lo, s0, v15
	v_sub_f32_e32 v26, v7, v8
	v_add_f32_e32 v2, v2, v21
	v_dual_add_f32 v8, v8, v19 :: v_dual_add_f32 v5, v5, v24
	v_cndmask_b32_e32 v25, v6, v25, vcc_lo
	v_cmp_gt_u32_e32 vcc_lo, s0, v16
	s_add_i32 s0, s1, s0
	s_delay_alu instid0(SALU_CYCLE_1) | instskip(NEXT) | instid1(VALU_DEP_2)
	s_and_b32 s0, s0, 0x7ff
	v_add_f32_e32 v6, v6, v25
	v_cndmask_b32_e32 v26, v7, v26, vcc_lo
	v_add_f32_e32 v4, v4, v23
	s_cmp_lg_u32 s4, 0
	s_delay_alu instid0(VALU_DEP_2)
	v_add_f32_e32 v7, v7, v26
	s_cbranch_scc0 .LBB219_4
.LBB219_2:                              ; =>This Inner Loop Header: Depth=1
	s_waitcnt vmcnt(0)
	v_mov_b32_e32 v19, v8
	s_mov_b32 s5, exec_lo
	ds_store_b32 v9, v1 offset:1024
	s_waitcnt lgkmcnt(0)
	s_barrier
	buffer_gl0_inv
	v_cmpx_gt_u32_e64 s0, v17
	s_cbranch_execz .LBB219_1
; %bb.3:                                ;   in Loop: Header=BB219_2 Depth=1
	ds_load_b32 v19, v18 offset:4
	s_waitcnt lgkmcnt(0)
	v_sub_f32_e32 v19, v8, v19
	s_branch .LBB219_1
.LBB219_4:
	v_lshlrev_b32_e32 v0, 2, v0
	s_add_u32 s0, s8, s2
	s_addc_u32 s1, s9, s3
	s_delay_alu instid0(VALU_DEP_1) | instskip(NEXT) | instid1(VALU_DEP_1)
	v_add_co_u32 v9, s2, s0, v0
	v_add_co_ci_u32_e64 v10, null, s1, 0, s2
	s_delay_alu instid0(VALU_DEP_2) | instskip(NEXT) | instid1(VALU_DEP_2)
	v_add_co_u32 v9, vcc_lo, 0x1000, v9
	v_add_co_ci_u32_e32 v10, vcc_lo, 0, v10, vcc_lo
	s_clause 0x7
	global_store_b32 v0, v1, s[0:1]
	global_store_b32 v0, v2, s[0:1] offset:1024
	global_store_b32 v0, v3, s[0:1] offset:2048
	;; [unrolled: 1-line block ×3, first 2 shown]
	global_store_b32 v[9:10], v5, off
	global_store_b32 v[9:10], v6, off offset:1024
	global_store_b32 v[9:10], v7, off offset:2048
	;; [unrolled: 1-line block ×3, first 2 shown]
	s_nop 0
	s_sendmsg sendmsg(MSG_DEALLOC_VGPRS)
	s_endpgm
	.section	.rodata,"a",@progbits
	.p2align	6, 0x0
	.amdhsa_kernel _Z6kernelI27subtract_right_partial_tileLj256ELj8ELb1EJPfPiS1_jEEvDpT3_
		.amdhsa_group_segment_fixed_size 2048
		.amdhsa_private_segment_fixed_size 0
		.amdhsa_kernarg_size 28
		.amdhsa_user_sgpr_count 15
		.amdhsa_user_sgpr_dispatch_ptr 0
		.amdhsa_user_sgpr_queue_ptr 0
		.amdhsa_user_sgpr_kernarg_segment_ptr 1
		.amdhsa_user_sgpr_dispatch_id 0
		.amdhsa_user_sgpr_private_segment_size 0
		.amdhsa_wavefront_size32 1
		.amdhsa_uses_dynamic_stack 0
		.amdhsa_enable_private_segment 0
		.amdhsa_system_sgpr_workgroup_id_x 1
		.amdhsa_system_sgpr_workgroup_id_y 0
		.amdhsa_system_sgpr_workgroup_id_z 0
		.amdhsa_system_sgpr_workgroup_info 0
		.amdhsa_system_vgpr_workitem_id 0
		.amdhsa_next_free_vgpr 27
		.amdhsa_next_free_sgpr 16
		.amdhsa_reserve_vcc 1
		.amdhsa_float_round_mode_32 0
		.amdhsa_float_round_mode_16_64 0
		.amdhsa_float_denorm_mode_32 3
		.amdhsa_float_denorm_mode_16_64 3
		.amdhsa_dx10_clamp 1
		.amdhsa_ieee_mode 1
		.amdhsa_fp16_overflow 0
		.amdhsa_workgroup_processor_mode 1
		.amdhsa_memory_ordered 1
		.amdhsa_forward_progress 0
		.amdhsa_shared_vgpr_count 0
		.amdhsa_exception_fp_ieee_invalid_op 0
		.amdhsa_exception_fp_denorm_src 0
		.amdhsa_exception_fp_ieee_div_zero 0
		.amdhsa_exception_fp_ieee_overflow 0
		.amdhsa_exception_fp_ieee_underflow 0
		.amdhsa_exception_fp_ieee_inexact 0
		.amdhsa_exception_int_div_zero 0
	.end_amdhsa_kernel
	.section	.text._Z6kernelI27subtract_right_partial_tileLj256ELj8ELb1EJPfPiS1_jEEvDpT3_,"axG",@progbits,_Z6kernelI27subtract_right_partial_tileLj256ELj8ELb1EJPfPiS1_jEEvDpT3_,comdat
.Lfunc_end219:
	.size	_Z6kernelI27subtract_right_partial_tileLj256ELj8ELb1EJPfPiS1_jEEvDpT3_, .Lfunc_end219-_Z6kernelI27subtract_right_partial_tileLj256ELj8ELb1EJPfPiS1_jEEvDpT3_
                                        ; -- End function
	.section	.AMDGPU.csdata,"",@progbits
; Kernel info:
; codeLenInByte = 736
; NumSgprs: 18
; NumVgprs: 27
; ScratchSize: 0
; MemoryBound: 0
; FloatMode: 240
; IeeeMode: 1
; LDSByteSize: 2048 bytes/workgroup (compile time only)
; SGPRBlocks: 2
; VGPRBlocks: 3
; NumSGPRsForWavesPerEU: 18
; NumVGPRsForWavesPerEU: 27
; Occupancy: 16
; WaveLimiterHint : 1
; COMPUTE_PGM_RSRC2:SCRATCH_EN: 0
; COMPUTE_PGM_RSRC2:USER_SGPR: 15
; COMPUTE_PGM_RSRC2:TRAP_HANDLER: 0
; COMPUTE_PGM_RSRC2:TGID_X_EN: 1
; COMPUTE_PGM_RSRC2:TGID_Y_EN: 0
; COMPUTE_PGM_RSRC2:TGID_Z_EN: 0
; COMPUTE_PGM_RSRC2:TIDIG_COMP_CNT: 0
	.section	.text._Z6kernelI27subtract_right_partial_tileLj256ELj16ELb1EJPfPiS1_jEEvDpT3_,"axG",@progbits,_Z6kernelI27subtract_right_partial_tileLj256ELj16ELb1EJPfPiS1_jEEvDpT3_,comdat
	.protected	_Z6kernelI27subtract_right_partial_tileLj256ELj16ELb1EJPfPiS1_jEEvDpT3_ ; -- Begin function _Z6kernelI27subtract_right_partial_tileLj256ELj16ELb1EJPfPiS1_jEEvDpT3_
	.globl	_Z6kernelI27subtract_right_partial_tileLj256ELj16ELb1EJPfPiS1_jEEvDpT3_
	.p2align	8
	.type	_Z6kernelI27subtract_right_partial_tileLj256ELj16ELb1EJPfPiS1_jEEvDpT3_,@function
_Z6kernelI27subtract_right_partial_tileLj256ELj16ELb1EJPfPiS1_jEEvDpT3_: ; @_Z6kernelI27subtract_right_partial_tileLj256ELj16ELb1EJPfPiS1_jEEvDpT3_
; %bb.0:
	s_clause 0x1
	s_load_b128 s[4:7], s[0:1], 0x0
	s_load_b64 s[8:9], s[0:1], 0x10
	s_mov_b32 s13, 0
	s_lshl_b32 s12, s15, 12
	v_lshlrev_b32_e32 v17, 2, v0
	s_lshl_b64 s[2:3], s[12:13], 2
	s_mov_b32 s10, s15
	v_lshlrev_b32_e32 v33, 4, v0
	s_delay_alu instid0(VALU_DEP_1)
	v_or_b32_e32 v22, 5, v33
	v_or_b32_e32 v23, 6, v33
	;; [unrolled: 1-line block ×8, first 2 shown]
	s_waitcnt lgkmcnt(0)
	s_add_u32 s4, s4, s2
	s_addc_u32 s5, s5, s3
	v_add_co_u32 v10, s11, s4, v17
	s_delay_alu instid0(VALU_DEP_1)
	v_add_co_ci_u32_e64 v11, null, s5, 0, s11
	s_clause 0x3
	global_load_b32 v4, v17, s[4:5]
	global_load_b32 v3, v17, s[4:5] offset:1024
	global_load_b32 v2, v17, s[4:5] offset:2048
	;; [unrolled: 1-line block ×3, first 2 shown]
	v_add_co_u32 v6, vcc_lo, 0x1000, v10
	v_add_co_ci_u32_e32 v7, vcc_lo, 0, v11, vcc_lo
	v_add_co_u32 v8, vcc_lo, v10, 0x2000
	v_add_co_ci_u32_e32 v9, vcc_lo, 0, v11, vcc_lo
	;; [unrolled: 2-line block ×3, first 2 shown]
	v_add_co_u32 v20, vcc_lo, 0x3000, v10
	s_clause 0x1
	global_load_b32 v5, v[8:9], off offset:-4096
	global_load_b32 v16, v[8:9], off
	v_add_co_ci_u32_e32 v21, vcc_lo, 0, v11, vcc_lo
	s_clause 0x9
	global_load_b32 v15, v[6:7], off offset:1024
	global_load_b32 v14, v[6:7], off offset:2048
	;; [unrolled: 1-line block ×6, first 2 shown]
	global_load_b32 v9, v[20:21], off
	global_load_b32 v8, v[20:21], off offset:1024
	global_load_b32 v7, v[20:21], off offset:2048
	;; [unrolled: 1-line block ×3, first 2 shown]
	s_load_b32 s4, s[0:1], 0x18
	s_mov_b32 s11, s13
	v_or_b32_e32 v19, 2, v33
	s_lshl_b64 s[0:1], s[10:11], 2
	v_or_b32_e32 v20, 3, v33
	s_add_u32 s0, s6, s0
	s_addc_u32 s1, s7, s1
	v_or_b32_e32 v21, 4, v33
	s_load_b32 s0, s[0:1], 0x0
	v_or_b32_e32 v30, 13, v33
	v_or_b32_e32 v31, 14, v33
	;; [unrolled: 1-line block ×3, first 2 shown]
	s_waitcnt lgkmcnt(0)
	v_cvt_f32_u32_e32 v18, s4
	s_sub_i32 s6, 0, s4
	s_delay_alu instid0(VALU_DEP_1) | instskip(SKIP_3) | instid1(VALU_DEP_2)
	v_rcp_iflag_f32_e32 v18, v18
	s_waitcnt_depctr 0xfff
	v_mul_f32_e32 v18, 0x4f7ffffe, v18
	v_or_b32_e32 v34, 0x400, v17
	v_cvt_u32_f32_e32 v18, v18
	s_delay_alu instid0(VALU_DEP_1) | instskip(SKIP_2) | instid1(VALU_DEP_3)
	v_readfirstlane_b32 s5, v18
	v_or_b32_e32 v18, 1, v33
	v_add_nc_u32_e32 v33, 16, v33
	s_mul_i32 s6, s6, s5
	s_delay_alu instid0(SALU_CYCLE_1) | instskip(NEXT) | instid1(SALU_CYCLE_1)
	s_mul_hi_u32 s6, s5, s6
	s_add_i32 s5, s5, s6
	s_delay_alu instid0(SALU_CYCLE_1) | instskip(NEXT) | instid1(SALU_CYCLE_1)
	s_lshr_b32 s5, s5, 20
	s_mul_i32 s6, s5, s4
	s_add_i32 s7, s5, 1
	s_sub_i32 s6, 0x1000, s6
	s_delay_alu instid0(SALU_CYCLE_1)
	s_sub_i32 s10, s6, s4
	s_cmp_ge_u32 s6, s4
	s_cselect_b32 s5, s7, s5
	s_cselect_b32 s6, s10, s6
	s_add_i32 s7, s5, 1
	s_cmp_ge_u32 s6, s4
	s_cselect_b32 s1, s7, s5
	s_max_u32 s4, s4, 1
	s_add_i32 s1, s1, 1
	s_branch .LBB220_2
.LBB220_1:                              ;   in Loop: Header=BB220_2 Depth=1
	s_or_b32 exec_lo, exec_lo, s5
	v_dual_sub_f32 v36, v4, v3 :: v_dual_sub_f32 v37, v3, v2
	v_cmp_gt_u32_e32 vcc_lo, s0, v18
	v_dual_sub_f32 v40, v5, v15 :: v_dual_sub_f32 v41, v15, v14
	v_dual_sub_f32 v42, v14, v13 :: v_dual_sub_f32 v43, v13, v16
	s_delay_alu instid0(VALU_DEP_4)
	v_cndmask_b32_e32 v36, v4, v36, vcc_lo
	v_cmp_gt_u32_e32 vcc_lo, s0, v19
	v_dual_sub_f32 v44, v16, v12 :: v_dual_sub_f32 v47, v10, v9
	v_dual_sub_f32 v45, v12, v11 :: v_dual_sub_f32 v46, v11, v10
	v_cndmask_b32_e32 v37, v3, v37, vcc_lo
	v_cmp_gt_u32_e32 vcc_lo, s0, v20
	v_sub_f32_e32 v39, v1, v5
	v_sub_f32_e32 v38, v2, v1
	v_dual_sub_f32 v48, v9, v8 :: v_dual_sub_f32 v49, v8, v7
	s_add_i32 s4, s4, -1
	s_delay_alu instid0(VALU_DEP_2)
	v_cndmask_b32_e32 v38, v2, v38, vcc_lo
	v_cmp_gt_u32_e32 vcc_lo, s0, v21
	s_barrier
	buffer_gl0_inv
	v_add_f32_e32 v3, v3, v37
	v_cndmask_b32_e32 v39, v1, v39, vcc_lo
	v_cmp_gt_u32_e32 vcc_lo, s0, v22
	s_delay_alu instid0(VALU_DEP_2)
	v_add_f32_e32 v1, v1, v39
	v_cndmask_b32_e32 v40, v5, v40, vcc_lo
	v_cmp_gt_u32_e32 vcc_lo, s0, v23
	v_cndmask_b32_e32 v41, v15, v41, vcc_lo
	v_cmp_gt_u32_e32 vcc_lo, s0, v24
	v_add_f32_e32 v4, v4, v36
	v_dual_add_f32 v2, v2, v38 :: v_dual_add_f32 v5, v5, v40
	s_delay_alu instid0(VALU_DEP_4) | instskip(SKIP_3) | instid1(VALU_DEP_2)
	v_dual_add_f32 v15, v15, v41 :: v_dual_cndmask_b32 v42, v14, v42
	v_cmp_gt_u32_e32 vcc_lo, s0, v25
	v_cndmask_b32_e32 v43, v13, v43, vcc_lo
	v_cmp_gt_u32_e32 vcc_lo, s0, v26
	v_dual_add_f32 v14, v14, v42 :: v_dual_add_f32 v13, v13, v43
	v_cndmask_b32_e32 v44, v16, v44, vcc_lo
	v_cmp_gt_u32_e32 vcc_lo, s0, v27
	v_cndmask_b32_e32 v45, v12, v45, vcc_lo
	v_cmp_gt_u32_e32 vcc_lo, s0, v28
	;; [unrolled: 2-line block ×3, first 2 shown]
	s_delay_alu instid0(VALU_DEP_2)
	v_add_f32_e32 v11, v11, v46
	v_cndmask_b32_e32 v47, v10, v47, vcc_lo
	v_cmp_gt_u32_e32 vcc_lo, s0, v30
	v_add_f32_e32 v16, v16, v44
	v_cndmask_b32_e32 v48, v9, v48, vcc_lo
	v_cmp_gt_u32_e32 vcc_lo, s0, v31
	v_sub_f32_e32 v50, v7, v6
	v_add_f32_e32 v12, v12, v45
	s_delay_alu instid0(VALU_DEP_4) | instskip(SKIP_3) | instid1(SALU_CYCLE_1)
	v_dual_add_f32 v6, v6, v35 :: v_dual_add_f32 v9, v9, v48
	v_cndmask_b32_e32 v49, v8, v49, vcc_lo
	v_cmp_gt_u32_e32 vcc_lo, s0, v32
	s_add_i32 s0, s1, s0
	s_and_b32 s0, s0, 0xfff
	s_delay_alu instid0(VALU_DEP_2) | instskip(SKIP_3) | instid1(VALU_DEP_2)
	v_add_f32_e32 v8, v8, v49
	v_cndmask_b32_e32 v50, v7, v50, vcc_lo
	v_add_f32_e32 v10, v10, v47
	s_cmp_lg_u32 s4, 0
	v_add_f32_e32 v7, v7, v50
	s_cbranch_scc0 .LBB220_4
.LBB220_2:                              ; =>This Inner Loop Header: Depth=1
	s_waitcnt vmcnt(0)
	v_mov_b32_e32 v35, v6
	s_mov_b32 s5, exec_lo
	ds_store_b32 v17, v4 offset:1024
	s_waitcnt lgkmcnt(0)
	s_barrier
	buffer_gl0_inv
	v_cmpx_gt_u32_e64 s0, v33
	s_cbranch_execz .LBB220_1
; %bb.3:                                ;   in Loop: Header=BB220_2 Depth=1
	ds_load_b32 v35, v34 offset:4
	s_waitcnt lgkmcnt(0)
	v_sub_f32_e32 v35, v6, v35
	s_branch .LBB220_1
.LBB220_4:
	v_lshlrev_b32_e32 v0, 2, v0
	s_add_u32 s0, s8, s2
	s_addc_u32 s1, s9, s3
	s_delay_alu instid0(VALU_DEP_1) | instskip(NEXT) | instid1(VALU_DEP_1)
	v_add_co_u32 v23, s2, s0, v0
	v_add_co_ci_u32_e64 v24, null, s1, 0, s2
	s_delay_alu instid0(VALU_DEP_2) | instskip(NEXT) | instid1(VALU_DEP_2)
	v_add_co_u32 v17, vcc_lo, 0x1000, v23
	v_add_co_ci_u32_e32 v18, vcc_lo, 0, v24, vcc_lo
	v_add_co_u32 v19, vcc_lo, v23, 0x2000
	v_add_co_ci_u32_e32 v20, vcc_lo, 0, v24, vcc_lo
	;; [unrolled: 2-line block ×3, first 2 shown]
	v_add_co_u32 v23, vcc_lo, 0x3000, v23
	global_store_b32 v[19:20], v16, off
	v_add_co_ci_u32_e32 v24, vcc_lo, 0, v24, vcc_lo
	s_clause 0xe
	global_store_b32 v0, v4, s[0:1]
	global_store_b32 v0, v3, s[0:1] offset:1024
	global_store_b32 v0, v2, s[0:1] offset:2048
	;; [unrolled: 1-line block ×3, first 2 shown]
	global_store_b32 v[17:18], v15, off offset:1024
	global_store_b32 v[17:18], v14, off offset:2048
	;; [unrolled: 1-line block ×6, first 2 shown]
	global_store_b32 v[23:24], v9, off
	global_store_b32 v[23:24], v8, off offset:1024
	global_store_b32 v[23:24], v7, off offset:2048
	global_store_b32 v[19:20], v5, off offset:-4096
	global_store_b32 v[23:24], v6, off offset:3072
	s_nop 0
	s_sendmsg sendmsg(MSG_DEALLOC_VGPRS)
	s_endpgm
	.section	.rodata,"a",@progbits
	.p2align	6, 0x0
	.amdhsa_kernel _Z6kernelI27subtract_right_partial_tileLj256ELj16ELb1EJPfPiS1_jEEvDpT3_
		.amdhsa_group_segment_fixed_size 2048
		.amdhsa_private_segment_fixed_size 0
		.amdhsa_kernarg_size 28
		.amdhsa_user_sgpr_count 15
		.amdhsa_user_sgpr_dispatch_ptr 0
		.amdhsa_user_sgpr_queue_ptr 0
		.amdhsa_user_sgpr_kernarg_segment_ptr 1
		.amdhsa_user_sgpr_dispatch_id 0
		.amdhsa_user_sgpr_private_segment_size 0
		.amdhsa_wavefront_size32 1
		.amdhsa_uses_dynamic_stack 0
		.amdhsa_enable_private_segment 0
		.amdhsa_system_sgpr_workgroup_id_x 1
		.amdhsa_system_sgpr_workgroup_id_y 0
		.amdhsa_system_sgpr_workgroup_id_z 0
		.amdhsa_system_sgpr_workgroup_info 0
		.amdhsa_system_vgpr_workitem_id 0
		.amdhsa_next_free_vgpr 51
		.amdhsa_next_free_sgpr 16
		.amdhsa_reserve_vcc 1
		.amdhsa_float_round_mode_32 0
		.amdhsa_float_round_mode_16_64 0
		.amdhsa_float_denorm_mode_32 3
		.amdhsa_float_denorm_mode_16_64 3
		.amdhsa_dx10_clamp 1
		.amdhsa_ieee_mode 1
		.amdhsa_fp16_overflow 0
		.amdhsa_workgroup_processor_mode 1
		.amdhsa_memory_ordered 1
		.amdhsa_forward_progress 0
		.amdhsa_shared_vgpr_count 0
		.amdhsa_exception_fp_ieee_invalid_op 0
		.amdhsa_exception_fp_denorm_src 0
		.amdhsa_exception_fp_ieee_div_zero 0
		.amdhsa_exception_fp_ieee_overflow 0
		.amdhsa_exception_fp_ieee_underflow 0
		.amdhsa_exception_fp_ieee_inexact 0
		.amdhsa_exception_int_div_zero 0
	.end_amdhsa_kernel
	.section	.text._Z6kernelI27subtract_right_partial_tileLj256ELj16ELb1EJPfPiS1_jEEvDpT3_,"axG",@progbits,_Z6kernelI27subtract_right_partial_tileLj256ELj16ELb1EJPfPiS1_jEEvDpT3_,comdat
.Lfunc_end220:
	.size	_Z6kernelI27subtract_right_partial_tileLj256ELj16ELb1EJPfPiS1_jEEvDpT3_, .Lfunc_end220-_Z6kernelI27subtract_right_partial_tileLj256ELj16ELb1EJPfPiS1_jEEvDpT3_
                                        ; -- End function
	.section	.AMDGPU.csdata,"",@progbits
; Kernel info:
; codeLenInByte = 1140
; NumSgprs: 18
; NumVgprs: 51
; ScratchSize: 0
; MemoryBound: 0
; FloatMode: 240
; IeeeMode: 1
; LDSByteSize: 2048 bytes/workgroup (compile time only)
; SGPRBlocks: 2
; VGPRBlocks: 6
; NumSGPRsForWavesPerEU: 18
; NumVGPRsForWavesPerEU: 51
; Occupancy: 16
; WaveLimiterHint : 1
; COMPUTE_PGM_RSRC2:SCRATCH_EN: 0
; COMPUTE_PGM_RSRC2:USER_SGPR: 15
; COMPUTE_PGM_RSRC2:TRAP_HANDLER: 0
; COMPUTE_PGM_RSRC2:TGID_X_EN: 1
; COMPUTE_PGM_RSRC2:TGID_Y_EN: 0
; COMPUTE_PGM_RSRC2:TGID_Z_EN: 0
; COMPUTE_PGM_RSRC2:TIDIG_COMP_CNT: 0
	.section	.text._Z6kernelI27subtract_right_partial_tileLj256ELj32ELb1EJPfPiS1_jEEvDpT3_,"axG",@progbits,_Z6kernelI27subtract_right_partial_tileLj256ELj32ELb1EJPfPiS1_jEEvDpT3_,comdat
	.protected	_Z6kernelI27subtract_right_partial_tileLj256ELj32ELb1EJPfPiS1_jEEvDpT3_ ; -- Begin function _Z6kernelI27subtract_right_partial_tileLj256ELj32ELb1EJPfPiS1_jEEvDpT3_
	.globl	_Z6kernelI27subtract_right_partial_tileLj256ELj32ELb1EJPfPiS1_jEEvDpT3_
	.p2align	8
	.type	_Z6kernelI27subtract_right_partial_tileLj256ELj32ELb1EJPfPiS1_jEEvDpT3_,@function
_Z6kernelI27subtract_right_partial_tileLj256ELj32ELb1EJPfPiS1_jEEvDpT3_: ; @_Z6kernelI27subtract_right_partial_tileLj256ELj32ELb1EJPfPiS1_jEEvDpT3_
; %bb.0:
	s_clause 0x1
	s_load_b128 s[4:7], s[0:1], 0x0
	s_load_b64 s[8:9], s[0:1], 0x10
	s_mov_b32 s13, 0
	s_lshl_b32 s12, s15, 13
	v_lshlrev_b32_e32 v25, 2, v0
	s_lshl_b64 s[2:3], s[12:13], 2
	s_mov_b32 s10, s15
	v_lshlrev_b32_e32 v65, 5, v0
	s_delay_alu instid0(VALU_DEP_1)
	v_or_b32_e32 v38, 5, v65
	v_or_b32_e32 v39, 6, v65
	v_or_b32_e32 v40, 7, v65
	v_or_b32_e32 v41, 8, v65
	v_or_b32_e32 v42, 9, v65
	v_or_b32_e32 v43, 10, v65
	v_or_b32_e32 v44, 11, v65
	v_or_b32_e32 v45, 12, v65
	s_waitcnt lgkmcnt(0)
	s_add_u32 s4, s4, s2
	s_addc_u32 s5, s5, s3
	v_add_co_u32 v30, s11, s4, v25
	s_delay_alu instid0(VALU_DEP_1)
	v_add_co_ci_u32_e64 v31, null, s5, 0, s11
	s_clause 0x3
	global_load_b32 v5, v25, s[4:5]
	global_load_b32 v4, v25, s[4:5] offset:1024
	global_load_b32 v3, v25, s[4:5] offset:2048
	;; [unrolled: 1-line block ×3, first 2 shown]
	v_add_co_u32 v6, vcc_lo, 0x1000, v30
	v_add_co_ci_u32_e32 v7, vcc_lo, 0, v31, vcc_lo
	v_add_co_u32 v10, vcc_lo, v30, 0x2000
	v_add_co_ci_u32_e32 v11, vcc_lo, 0, v31, vcc_lo
	;; [unrolled: 2-line block ×9, first 2 shown]
	v_add_co_u32 v36, vcc_lo, 0x7000, v30
	s_clause 0xd
	global_load_b32 v29, v[6:7], off offset:1024
	global_load_b32 v28, v[6:7], off offset:2048
	;; [unrolled: 1-line block ×8, first 2 shown]
	global_load_b32 v1, v[10:11], off offset:-4096
	global_load_b32 v14, v[10:11], off
	global_load_b32 v13, v[17:18], off offset:-4096
	global_load_b32 v12, v[17:18], off
	global_load_b32 v11, v[23:24], off offset:-4096
	global_load_b32 v10, v[23:24], off
	v_add_co_ci_u32_e32 v37, vcc_lo, 0, v31, vcc_lo
	s_clause 0xd
	global_load_b32 v33, v[15:16], off offset:3072
	global_load_b32 v32, v[19:20], off offset:1024
	;; [unrolled: 1-line block ×10, first 2 shown]
	global_load_b32 v18, v[36:37], off
	global_load_b32 v17, v[36:37], off offset:1024
	global_load_b32 v16, v[36:37], off offset:2048
	;; [unrolled: 1-line block ×3, first 2 shown]
	s_load_b32 s4, s[0:1], 0x18
	s_mov_b32 s11, s13
	v_or_b32_e32 v35, 2, v65
	s_lshl_b64 s[0:1], s[10:11], 2
	v_or_b32_e32 v36, 3, v65
	s_add_u32 s0, s6, s0
	s_addc_u32 s1, s7, s1
	v_or_b32_e32 v37, 4, v65
	s_load_b32 s0, s[0:1], 0x0
	v_or_b32_e32 v46, 13, v65
	v_or_b32_e32 v47, 14, v65
	;; [unrolled: 1-line block ×11, first 2 shown]
	s_waitcnt lgkmcnt(0)
	v_cvt_f32_u32_e32 v34, s4
	s_sub_i32 s6, 0, s4
	v_or_b32_e32 v57, 24, v65
	v_or_b32_e32 v58, 25, v65
	;; [unrolled: 1-line block ×3, first 2 shown]
	v_rcp_iflag_f32_e32 v34, v34
	v_or_b32_e32 v60, 27, v65
	v_or_b32_e32 v61, 28, v65
	;; [unrolled: 1-line block ×5, first 2 shown]
	s_waitcnt_depctr 0xfff
	v_mul_f32_e32 v34, 0x4f7ffffe, v34
	v_or_b32_e32 v66, 0x400, v25
	s_delay_alu instid0(VALU_DEP_2) | instskip(NEXT) | instid1(VALU_DEP_1)
	v_cvt_u32_f32_e32 v34, v34
	v_readfirstlane_b32 s5, v34
	v_or_b32_e32 v34, 1, v65
	v_add_nc_u32_e32 v65, 32, v65
	s_delay_alu instid0(VALU_DEP_3) | instskip(NEXT) | instid1(SALU_CYCLE_1)
	s_mul_i32 s6, s6, s5
	s_mul_hi_u32 s6, s5, s6
	s_delay_alu instid0(SALU_CYCLE_1) | instskip(NEXT) | instid1(SALU_CYCLE_1)
	s_add_i32 s5, s5, s6
	s_lshr_b32 s5, s5, 19
	s_delay_alu instid0(SALU_CYCLE_1) | instskip(SKIP_2) | instid1(SALU_CYCLE_1)
	s_mul_i32 s6, s5, s4
	s_add_i32 s7, s5, 1
	s_sub_i32 s6, 0x2000, s6
	s_sub_i32 s10, s6, s4
	s_cmp_ge_u32 s6, s4
	s_cselect_b32 s5, s7, s5
	s_cselect_b32 s6, s10, s6
	s_add_i32 s7, s5, 1
	s_cmp_ge_u32 s6, s4
	s_cselect_b32 s1, s7, s5
	s_max_u32 s4, s4, 1
	s_add_i32 s1, s1, 1
	s_branch .LBB221_2
.LBB221_1:                              ;   in Loop: Header=BB221_2 Depth=1
	s_or_b32 exec_lo, exec_lo, s5
	v_dual_sub_f32 v68, v5, v4 :: v_dual_sub_f32 v69, v4, v3
	v_cmp_gt_u32_e32 vcc_lo, s0, v34
	v_dual_sub_f32 v81, v9, v8 :: v_dual_sub_f32 v82, v8, v33
	v_sub_f32_e32 v71, v2, v1
	s_add_i32 s4, s4, -1
	v_cndmask_b32_e32 v68, v5, v68, vcc_lo
	v_cmp_gt_u32_e32 vcc_lo, s0, v35
	v_sub_f32_e32 v70, v3, v2
	s_barrier
	buffer_gl0_inv
	v_cndmask_b32_e32 v69, v4, v69, vcc_lo
	v_cmp_gt_u32_e32 vcc_lo, s0, v36
	v_sub_f32_e32 v73, v29, v28
	v_sub_f32_e32 v75, v27, v14
	;; [unrolled: 1-line block ×3, first 2 shown]
	v_dual_sub_f32 v85, v32, v31 :: v_dual_cndmask_b32 v70, v3, v70
	v_cmp_gt_u32_e32 vcc_lo, s0, v37
	v_sub_f32_e32 v72, v1, v29
	v_dual_add_f32 v4, v4, v69 :: v_dual_sub_f32 v87, v30, v11
	s_delay_alu instid0(VALU_DEP_4)
	v_add_f32_e32 v3, v3, v70
	v_cndmask_b32_e32 v71, v2, v71, vcc_lo
	v_cmp_gt_u32_e32 vcc_lo, s0, v38
	v_dual_add_f32 v5, v5, v68 :: v_dual_sub_f32 v68, v24, v23
	v_dual_sub_f32 v69, v23, v22 :: v_dual_cndmask_b32 v72, v1, v72
	v_cmp_gt_u32_e32 vcc_lo, s0, v39
	v_sub_f32_e32 v74, v28, v27
	s_delay_alu instid0(VALU_DEP_3) | instskip(SKIP_4) | instid1(VALU_DEP_4)
	v_dual_sub_f32 v70, v22, v10 :: v_dual_add_f32 v1, v1, v72
	v_cndmask_b32_e32 v73, v29, v73, vcc_lo
	v_cmp_gt_u32_e32 vcc_lo, s0, v40
	v_add_f32_e32 v2, v2, v71
	v_sub_f32_e32 v71, v10, v21
	v_dual_add_f32 v29, v29, v73 :: v_dual_cndmask_b32 v74, v28, v74
	v_cmp_gt_u32_e32 vcc_lo, s0, v41
	v_dual_sub_f32 v76, v14, v26 :: v_dual_sub_f32 v73, v20, v19
	v_cndmask_b32_e32 v75, v27, v75, vcc_lo
	v_cmp_gt_u32_e32 vcc_lo, s0, v42
	v_add_f32_e32 v28, v28, v74
	v_sub_f32_e32 v74, v19, v18
	s_delay_alu instid0(VALU_DEP_4)
	v_add_f32_e32 v27, v27, v75
	v_sub_f32_e32 v75, v18, v17
	v_cndmask_b32_e32 v76, v14, v76, vcc_lo
	v_cmp_gt_u32_e32 vcc_lo, s0, v43
	v_dual_sub_f32 v78, v7, v6 :: v_dual_cndmask_b32 v77, v26, v77
	v_cmp_gt_u32_e32 vcc_lo, s0, v44
	s_delay_alu instid0(VALU_DEP_2) | instskip(SKIP_3) | instid1(VALU_DEP_4)
	v_dual_sub_f32 v79, v6, v13 :: v_dual_cndmask_b32 v78, v7, v78
	v_cmp_gt_u32_e32 vcc_lo, s0, v45
	v_sub_f32_e32 v80, v13, v9
	v_dual_add_f32 v26, v26, v77 :: v_dual_sub_f32 v77, v16, v15
	v_add_f32_e32 v7, v7, v78
	v_cndmask_b32_e32 v79, v6, v79, vcc_lo
	v_cmp_gt_u32_e32 vcc_lo, s0, v46
	v_dual_add_f32 v15, v15, v67 :: v_dual_cndmask_b32 v80, v13, v80
	v_cmp_gt_u32_e32 vcc_lo, s0, v47
	s_delay_alu instid0(VALU_DEP_2) | instskip(SKIP_4) | instid1(VALU_DEP_4)
	v_dual_add_f32 v6, v6, v79 :: v_dual_add_f32 v13, v13, v80
	v_cndmask_b32_e32 v81, v9, v81, vcc_lo
	v_cmp_gt_u32_e32 vcc_lo, s0, v48
	v_dual_sub_f32 v83, v33, v12 :: v_dual_cndmask_b32 v82, v8, v82
	v_cmp_gt_u32_e32 vcc_lo, s0, v49
	v_dual_sub_f32 v84, v12, v32 :: v_dual_add_f32 v9, v9, v81
	s_delay_alu instid0(VALU_DEP_3) | instskip(SKIP_1) | instid1(VALU_DEP_3)
	v_dual_add_f32 v8, v8, v82 :: v_dual_cndmask_b32 v83, v33, v83
	v_cmp_gt_u32_e32 vcc_lo, s0, v50
	v_cndmask_b32_e32 v84, v12, v84, vcc_lo
	v_cmp_gt_u32_e32 vcc_lo, s0, v51
	s_delay_alu instid0(VALU_DEP_4) | instskip(NEXT) | instid1(VALU_DEP_3)
	v_dual_sub_f32 v86, v31, v30 :: v_dual_add_f32 v33, v33, v83
	v_add_f32_e32 v12, v12, v84
	v_cndmask_b32_e32 v85, v32, v85, vcc_lo
	v_cmp_gt_u32_e32 vcc_lo, s0, v52
	s_delay_alu instid0(VALU_DEP_4) | instskip(SKIP_2) | instid1(VALU_DEP_3)
	v_cndmask_b32_e32 v86, v31, v86, vcc_lo
	v_cmp_gt_u32_e32 vcc_lo, s0, v53
	v_sub_f32_e32 v88, v11, v24
	v_add_f32_e32 v31, v31, v86
	v_cndmask_b32_e32 v87, v30, v87, vcc_lo
	v_cmp_gt_u32_e32 vcc_lo, s0, v54
	s_delay_alu instid0(VALU_DEP_4) | instskip(SKIP_1) | instid1(VALU_DEP_2)
	v_cndmask_b32_e32 v88, v11, v88, vcc_lo
	v_cmp_gt_u32_e32 vcc_lo, s0, v55
	v_dual_add_f32 v32, v32, v85 :: v_dual_add_f32 v11, v11, v88
	v_cndmask_b32_e32 v68, v24, v68, vcc_lo
	v_cmp_gt_u32_e32 vcc_lo, s0, v56
	v_cndmask_b32_e32 v69, v23, v69, vcc_lo
	v_cmp_gt_u32_e32 vcc_lo, s0, v57
	s_delay_alu instid0(VALU_DEP_2) | instskip(SKIP_4) | instid1(VALU_DEP_2)
	v_dual_add_f32 v30, v30, v87 :: v_dual_add_f32 v23, v23, v69
	v_cndmask_b32_e32 v70, v22, v70, vcc_lo
	v_cmp_gt_u32_e32 vcc_lo, s0, v58
	v_dual_sub_f32 v72, v21, v20 :: v_dual_cndmask_b32 v71, v10, v71
	v_cmp_gt_u32_e32 vcc_lo, s0, v59
	v_cndmask_b32_e32 v72, v21, v72, vcc_lo
	v_cmp_gt_u32_e32 vcc_lo, s0, v60
	v_add_f32_e32 v14, v14, v76
	s_delay_alu instid0(VALU_DEP_3) | instskip(SKIP_2) | instid1(VALU_DEP_2)
	v_dual_add_f32 v22, v22, v70 :: v_dual_add_f32 v21, v21, v72
	v_cndmask_b32_e32 v73, v20, v73, vcc_lo
	v_cmp_gt_u32_e32 vcc_lo, s0, v61
	v_add_f32_e32 v20, v20, v73
	v_cndmask_b32_e32 v74, v19, v74, vcc_lo
	v_cmp_gt_u32_e32 vcc_lo, s0, v62
	v_dual_sub_f32 v76, v17, v16 :: v_dual_cndmask_b32 v75, v18, v75
	v_cmp_gt_u32_e32 vcc_lo, s0, v63
	s_delay_alu instid0(VALU_DEP_2) | instskip(NEXT) | instid1(VALU_DEP_3)
	v_add_f32_e32 v18, v18, v75
	v_cndmask_b32_e32 v76, v17, v76, vcc_lo
	v_cmp_gt_u32_e32 vcc_lo, s0, v64
	v_add_f32_e32 v10, v10, v71
	s_add_i32 s0, s1, s0
	s_delay_alu instid0(VALU_DEP_3) | instskip(SKIP_4) | instid1(VALU_DEP_2)
	v_add_f32_e32 v17, v17, v76
	v_cndmask_b32_e32 v77, v16, v77, vcc_lo
	v_dual_add_f32 v24, v24, v68 :: v_dual_add_f32 v19, v19, v74
	s_and_b32 s0, s0, 0x1fff
	s_cmp_lg_u32 s4, 0
	v_add_f32_e32 v16, v16, v77
	s_cbranch_scc0 .LBB221_4
.LBB221_2:                              ; =>This Inner Loop Header: Depth=1
	s_waitcnt vmcnt(0)
	v_mov_b32_e32 v67, v15
	s_mov_b32 s5, exec_lo
	ds_store_b32 v25, v5 offset:1024
	s_waitcnt lgkmcnt(0)
	s_barrier
	buffer_gl0_inv
	v_cmpx_gt_u32_e64 s0, v65
	s_cbranch_execz .LBB221_1
; %bb.3:                                ;   in Loop: Header=BB221_2 Depth=1
	ds_load_b32 v67, v66 offset:4
	s_waitcnt lgkmcnt(0)
	v_sub_f32_e32 v67, v15, v67
	s_branch .LBB221_1
.LBB221_4:
	v_lshlrev_b32_e32 v0, 2, v0
	s_add_u32 s0, s8, s2
	s_addc_u32 s1, s9, s3
	s_delay_alu instid0(VALU_DEP_1) | instskip(NEXT) | instid1(VALU_DEP_1)
	v_add_co_u32 v40, s2, s0, v0
	v_add_co_ci_u32_e64 v41, null, s1, 0, s2
	s_delay_alu instid0(VALU_DEP_2) | instskip(NEXT) | instid1(VALU_DEP_2)
	v_add_co_u32 v34, vcc_lo, 0x1000, v40
	v_add_co_ci_u32_e32 v35, vcc_lo, 0, v41, vcc_lo
	v_add_co_u32 v36, vcc_lo, v40, 0x2000
	v_add_co_ci_u32_e32 v37, vcc_lo, 0, v41, vcc_lo
	;; [unrolled: 2-line block ×3, first 2 shown]
	s_clause 0x7
	global_store_b32 v0, v5, s[0:1]
	global_store_b32 v0, v4, s[0:1] offset:1024
	global_store_b32 v0, v3, s[0:1] offset:2048
	global_store_b32 v0, v2, s[0:1] offset:3072
	global_store_b32 v[34:35], v29, off offset:1024
	global_store_b32 v[34:35], v28, off offset:2048
	;; [unrolled: 1-line block ×4, first 2 shown]
	v_add_co_u32 v2, vcc_lo, 0x3000, v40
	v_add_co_ci_u32_e32 v3, vcc_lo, 0, v41, vcc_lo
	v_add_co_u32 v4, vcc_lo, v40, 0x4000
	v_add_co_ci_u32_e32 v5, vcc_lo, 0, v41, vcc_lo
	;; [unrolled: 2-line block ×3, first 2 shown]
	s_clause 0x7
	global_store_b32 v[38:39], v7, off offset:2048
	global_store_b32 v[38:39], v6, off offset:3072
	;; [unrolled: 1-line block ×8, first 2 shown]
	v_add_co_u32 v2, vcc_lo, 0x5000, v40
	v_add_co_ci_u32_e32 v3, vcc_lo, 0, v41, vcc_lo
	v_add_co_u32 v6, vcc_lo, v40, 0x6000
	v_add_co_ci_u32_e32 v7, vcc_lo, 0, v41, vcc_lo
	;; [unrolled: 2-line block ×3, first 2 shown]
	s_clause 0x4
	global_store_b32 v[36:37], v14, off
	global_store_b32 v[4:5], v13, off offset:-4096
	global_store_b32 v[4:5], v12, off
	global_store_b32 v[6:7], v11, off offset:-4096
	global_store_b32 v[6:7], v10, off
	v_add_co_u32 v4, vcc_lo, 0x7000, v40
	v_add_co_ci_u32_e32 v5, vcc_lo, 0, v41, vcc_lo
	s_clause 0xa
	global_store_b32 v[2:3], v24, off offset:1024
	global_store_b32 v[2:3], v23, off offset:2048
	;; [unrolled: 1-line block ×6, first 2 shown]
	global_store_b32 v[4:5], v18, off
	global_store_b32 v[4:5], v17, off offset:1024
	global_store_b32 v[4:5], v16, off offset:2048
	global_store_b32 v[36:37], v1, off offset:-4096
	global_store_b32 v[4:5], v15, off offset:3072
	s_nop 0
	s_sendmsg sendmsg(MSG_DEALLOC_VGPRS)
	s_endpgm
	.section	.rodata,"a",@progbits
	.p2align	6, 0x0
	.amdhsa_kernel _Z6kernelI27subtract_right_partial_tileLj256ELj32ELb1EJPfPiS1_jEEvDpT3_
		.amdhsa_group_segment_fixed_size 2048
		.amdhsa_private_segment_fixed_size 0
		.amdhsa_kernarg_size 28
		.amdhsa_user_sgpr_count 15
		.amdhsa_user_sgpr_dispatch_ptr 0
		.amdhsa_user_sgpr_queue_ptr 0
		.amdhsa_user_sgpr_kernarg_segment_ptr 1
		.amdhsa_user_sgpr_dispatch_id 0
		.amdhsa_user_sgpr_private_segment_size 0
		.amdhsa_wavefront_size32 1
		.amdhsa_uses_dynamic_stack 0
		.amdhsa_enable_private_segment 0
		.amdhsa_system_sgpr_workgroup_id_x 1
		.amdhsa_system_sgpr_workgroup_id_y 0
		.amdhsa_system_sgpr_workgroup_id_z 0
		.amdhsa_system_sgpr_workgroup_info 0
		.amdhsa_system_vgpr_workitem_id 0
		.amdhsa_next_free_vgpr 89
		.amdhsa_next_free_sgpr 16
		.amdhsa_reserve_vcc 1
		.amdhsa_float_round_mode_32 0
		.amdhsa_float_round_mode_16_64 0
		.amdhsa_float_denorm_mode_32 3
		.amdhsa_float_denorm_mode_16_64 3
		.amdhsa_dx10_clamp 1
		.amdhsa_ieee_mode 1
		.amdhsa_fp16_overflow 0
		.amdhsa_workgroup_processor_mode 1
		.amdhsa_memory_ordered 1
		.amdhsa_forward_progress 0
		.amdhsa_shared_vgpr_count 0
		.amdhsa_exception_fp_ieee_invalid_op 0
		.amdhsa_exception_fp_denorm_src 0
		.amdhsa_exception_fp_ieee_div_zero 0
		.amdhsa_exception_fp_ieee_overflow 0
		.amdhsa_exception_fp_ieee_underflow 0
		.amdhsa_exception_fp_ieee_inexact 0
		.amdhsa_exception_int_div_zero 0
	.end_amdhsa_kernel
	.section	.text._Z6kernelI27subtract_right_partial_tileLj256ELj32ELb1EJPfPiS1_jEEvDpT3_,"axG",@progbits,_Z6kernelI27subtract_right_partial_tileLj256ELj32ELb1EJPfPiS1_jEEvDpT3_,comdat
.Lfunc_end221:
	.size	_Z6kernelI27subtract_right_partial_tileLj256ELj32ELb1EJPfPiS1_jEEvDpT3_, .Lfunc_end221-_Z6kernelI27subtract_right_partial_tileLj256ELj32ELb1EJPfPiS1_jEEvDpT3_
                                        ; -- End function
	.section	.AMDGPU.csdata,"",@progbits
; Kernel info:
; codeLenInByte = 1940
; NumSgprs: 18
; NumVgprs: 89
; ScratchSize: 0
; MemoryBound: 0
; FloatMode: 240
; IeeeMode: 1
; LDSByteSize: 2048 bytes/workgroup (compile time only)
; SGPRBlocks: 2
; VGPRBlocks: 11
; NumSGPRsForWavesPerEU: 18
; NumVGPRsForWavesPerEU: 89
; Occupancy: 16
; WaveLimiterHint : 1
; COMPUTE_PGM_RSRC2:SCRATCH_EN: 0
; COMPUTE_PGM_RSRC2:USER_SGPR: 15
; COMPUTE_PGM_RSRC2:TRAP_HANDLER: 0
; COMPUTE_PGM_RSRC2:TGID_X_EN: 1
; COMPUTE_PGM_RSRC2:TGID_Y_EN: 0
; COMPUTE_PGM_RSRC2:TGID_Z_EN: 0
; COMPUTE_PGM_RSRC2:TIDIG_COMP_CNT: 0
	.section	.text._Z6kernelI27subtract_right_partial_tileLj256ELj1ELb1EJPaPiS1_jEEvDpT3_,"axG",@progbits,_Z6kernelI27subtract_right_partial_tileLj256ELj1ELb1EJPaPiS1_jEEvDpT3_,comdat
	.protected	_Z6kernelI27subtract_right_partial_tileLj256ELj1ELb1EJPaPiS1_jEEvDpT3_ ; -- Begin function _Z6kernelI27subtract_right_partial_tileLj256ELj1ELb1EJPaPiS1_jEEvDpT3_
	.globl	_Z6kernelI27subtract_right_partial_tileLj256ELj1ELb1EJPaPiS1_jEEvDpT3_
	.p2align	8
	.type	_Z6kernelI27subtract_right_partial_tileLj256ELj1ELb1EJPaPiS1_jEEvDpT3_,@function
_Z6kernelI27subtract_right_partial_tileLj256ELj1ELb1EJPaPiS1_jEEvDpT3_: ; @_Z6kernelI27subtract_right_partial_tileLj256ELj1ELb1EJPaPiS1_jEEvDpT3_
; %bb.0:
	s_clause 0x1
	s_load_b128 s[8:11], s[0:1], 0x0
	s_load_b64 s[2:3], s[0:1], 0x10
	s_lshl_b32 s4, s15, 8
	s_load_b32 s5, s[0:1], 0x18
	s_mov_b32 s6, s15
	s_mov_b32 s7, 0
	s_waitcnt lgkmcnt(0)
	s_add_u32 s8, s8, s4
	s_addc_u32 s9, s9, 0
	s_lshl_b64 s[0:1], s[6:7], 2
	global_load_u8 v1, v0, s[8:9]
	v_cvt_f32_u32_e32 v2, s5
	s_add_u32 s0, s10, s0
	s_addc_u32 s1, s11, s1
	s_sub_i32 s7, 0, s5
	s_load_b32 s0, s[0:1], 0x0
	v_rcp_iflag_f32_e32 v2, v2
	s_waitcnt_depctr 0xfff
	v_mul_f32_e32 v2, 0x4f7ffffe, v2
	s_delay_alu instid0(VALU_DEP_1) | instskip(NEXT) | instid1(VALU_DEP_1)
	v_cvt_u32_f32_e32 v2, v2
	v_readfirstlane_b32 s6, v2
	v_add_nc_u32_e32 v2, 1, v0
	s_delay_alu instid0(VALU_DEP_2) | instskip(NEXT) | instid1(SALU_CYCLE_1)
	s_mul_i32 s7, s7, s6
	s_mul_hi_u32 s7, s6, s7
	s_delay_alu instid0(SALU_CYCLE_1) | instskip(NEXT) | instid1(SALU_CYCLE_1)
	s_add_i32 s6, s6, s7
	s_lshr_b32 s1, s6, 24
	s_delay_alu instid0(SALU_CYCLE_1) | instskip(SKIP_2) | instid1(SALU_CYCLE_1)
	s_mul_i32 s6, s1, s5
	s_add_i32 s7, s1, 1
	s_sub_i32 s6, 0x100, s6
	s_sub_i32 s8, s6, s5
	s_cmp_ge_u32 s6, s5
	s_cselect_b32 s1, s7, s1
	s_cselect_b32 s6, s8, s6
	s_add_i32 s7, s1, 1
	s_cmp_ge_u32 s6, s5
	s_cselect_b32 s1, s7, s1
	s_max_u32 s5, s5, 1
	s_add_i32 s1, s1, 1
	s_branch .LBB222_2
	.p2align	6
.LBB222_1:                              ;   in Loop: Header=BB222_2 Depth=1
	s_or_b32 exec_lo, exec_lo, s6
	s_add_i32 s0, s1, s0
	s_delay_alu instid0(VALU_DEP_1)
	v_add_nc_u16 v1, v3, v1
	s_add_i32 s5, s5, -1
	s_and_b32 s0, s0, 0xff
	s_cmp_lg_u32 s5, 0
	s_barrier
	buffer_gl0_inv
	s_cbranch_scc0 .LBB222_4
.LBB222_2:                              ; =>This Inner Loop Header: Depth=1
	s_waitcnt vmcnt(0)
	v_mov_b32_e32 v3, v1
	s_mov_b32 s6, exec_lo
	ds_store_b8 v0, v1 offset:256
	s_waitcnt lgkmcnt(0)
	s_barrier
	buffer_gl0_inv
	v_cmpx_gt_u32_e64 s0, v2
	s_cbranch_execz .LBB222_1
; %bb.3:                                ;   in Loop: Header=BB222_2 Depth=1
	ds_load_u8 v3, v0 offset:257
	s_waitcnt lgkmcnt(0)
	v_sub_nc_u16 v3, v1, v3
	s_branch .LBB222_1
.LBB222_4:
	s_add_u32 s0, s2, s4
	s_addc_u32 s1, s3, 0
	v_add_co_u32 v2, s0, s0, v0
	s_delay_alu instid0(VALU_DEP_1)
	v_add_co_ci_u32_e64 v3, null, s1, 0, s0
	global_store_b8 v[2:3], v1, off
	s_nop 0
	s_sendmsg sendmsg(MSG_DEALLOC_VGPRS)
	s_endpgm
	.section	.rodata,"a",@progbits
	.p2align	6, 0x0
	.amdhsa_kernel _Z6kernelI27subtract_right_partial_tileLj256ELj1ELb1EJPaPiS1_jEEvDpT3_
		.amdhsa_group_segment_fixed_size 512
		.amdhsa_private_segment_fixed_size 0
		.amdhsa_kernarg_size 28
		.amdhsa_user_sgpr_count 15
		.amdhsa_user_sgpr_dispatch_ptr 0
		.amdhsa_user_sgpr_queue_ptr 0
		.amdhsa_user_sgpr_kernarg_segment_ptr 1
		.amdhsa_user_sgpr_dispatch_id 0
		.amdhsa_user_sgpr_private_segment_size 0
		.amdhsa_wavefront_size32 1
		.amdhsa_uses_dynamic_stack 0
		.amdhsa_enable_private_segment 0
		.amdhsa_system_sgpr_workgroup_id_x 1
		.amdhsa_system_sgpr_workgroup_id_y 0
		.amdhsa_system_sgpr_workgroup_id_z 0
		.amdhsa_system_sgpr_workgroup_info 0
		.amdhsa_system_vgpr_workitem_id 0
		.amdhsa_next_free_vgpr 4
		.amdhsa_next_free_sgpr 16
		.amdhsa_reserve_vcc 0
		.amdhsa_float_round_mode_32 0
		.amdhsa_float_round_mode_16_64 0
		.amdhsa_float_denorm_mode_32 3
		.amdhsa_float_denorm_mode_16_64 3
		.amdhsa_dx10_clamp 1
		.amdhsa_ieee_mode 1
		.amdhsa_fp16_overflow 0
		.amdhsa_workgroup_processor_mode 1
		.amdhsa_memory_ordered 1
		.amdhsa_forward_progress 0
		.amdhsa_shared_vgpr_count 0
		.amdhsa_exception_fp_ieee_invalid_op 0
		.amdhsa_exception_fp_denorm_src 0
		.amdhsa_exception_fp_ieee_div_zero 0
		.amdhsa_exception_fp_ieee_overflow 0
		.amdhsa_exception_fp_ieee_underflow 0
		.amdhsa_exception_fp_ieee_inexact 0
		.amdhsa_exception_int_div_zero 0
	.end_amdhsa_kernel
	.section	.text._Z6kernelI27subtract_right_partial_tileLj256ELj1ELb1EJPaPiS1_jEEvDpT3_,"axG",@progbits,_Z6kernelI27subtract_right_partial_tileLj256ELj1ELb1EJPaPiS1_jEEvDpT3_,comdat
.Lfunc_end222:
	.size	_Z6kernelI27subtract_right_partial_tileLj256ELj1ELb1EJPaPiS1_jEEvDpT3_, .Lfunc_end222-_Z6kernelI27subtract_right_partial_tileLj256ELj1ELb1EJPaPiS1_jEEvDpT3_
                                        ; -- End function
	.section	.AMDGPU.csdata,"",@progbits
; Kernel info:
; codeLenInByte = 376
; NumSgprs: 16
; NumVgprs: 4
; ScratchSize: 0
; MemoryBound: 0
; FloatMode: 240
; IeeeMode: 1
; LDSByteSize: 512 bytes/workgroup (compile time only)
; SGPRBlocks: 1
; VGPRBlocks: 0
; NumSGPRsForWavesPerEU: 16
; NumVGPRsForWavesPerEU: 4
; Occupancy: 16
; WaveLimiterHint : 0
; COMPUTE_PGM_RSRC2:SCRATCH_EN: 0
; COMPUTE_PGM_RSRC2:USER_SGPR: 15
; COMPUTE_PGM_RSRC2:TRAP_HANDLER: 0
; COMPUTE_PGM_RSRC2:TGID_X_EN: 1
; COMPUTE_PGM_RSRC2:TGID_Y_EN: 0
; COMPUTE_PGM_RSRC2:TGID_Z_EN: 0
; COMPUTE_PGM_RSRC2:TIDIG_COMP_CNT: 0
	.section	.text._Z6kernelI27subtract_right_partial_tileLj256ELj3ELb1EJPaPiS1_jEEvDpT3_,"axG",@progbits,_Z6kernelI27subtract_right_partial_tileLj256ELj3ELb1EJPaPiS1_jEEvDpT3_,comdat
	.protected	_Z6kernelI27subtract_right_partial_tileLj256ELj3ELb1EJPaPiS1_jEEvDpT3_ ; -- Begin function _Z6kernelI27subtract_right_partial_tileLj256ELj3ELb1EJPaPiS1_jEEvDpT3_
	.globl	_Z6kernelI27subtract_right_partial_tileLj256ELj3ELb1EJPaPiS1_jEEvDpT3_
	.p2align	8
	.type	_Z6kernelI27subtract_right_partial_tileLj256ELj3ELb1EJPaPiS1_jEEvDpT3_,@function
_Z6kernelI27subtract_right_partial_tileLj256ELj3ELb1EJPaPiS1_jEEvDpT3_: ; @_Z6kernelI27subtract_right_partial_tileLj256ELj3ELb1EJPaPiS1_jEEvDpT3_
; %bb.0:
	s_clause 0x1
	s_load_b128 s[8:11], s[0:1], 0x0
	s_load_b64 s[2:3], s[0:1], 0x10
	s_mul_i32 s4, s15, 0x300
	s_load_b32 s5, s[0:1], 0x18
	s_mov_b32 s6, s15
	s_mov_b32 s7, 0
                                        ; implicit-def: $vgpr5
	s_waitcnt lgkmcnt(0)
	s_add_u32 s8, s8, s4
	s_addc_u32 s9, s9, 0
	s_lshl_b64 s[0:1], s[6:7], 2
	s_clause 0x2
	global_load_u8 v1, v0, s[8:9] offset:256
	global_load_u8 v2, v0, s[8:9]
	global_load_u8 v3, v0, s[8:9] offset:512
	v_cvt_f32_u32_e32 v4, s5
	s_add_u32 s0, s10, s0
	s_addc_u32 s1, s11, s1
	s_sub_i32 s7, 0, s5
	s_load_b32 s0, s[0:1], 0x0
	v_rcp_iflag_f32_e32 v4, v4
	s_waitcnt_depctr 0xfff
	v_mul_f32_e32 v4, 0x4f7ffffe, v4
	s_delay_alu instid0(VALU_DEP_1) | instskip(NEXT) | instid1(VALU_DEP_1)
	v_cvt_u32_f32_e32 v4, v4
	v_readfirstlane_b32 s6, v4
	s_delay_alu instid0(VALU_DEP_1) | instskip(NEXT) | instid1(SALU_CYCLE_1)
	s_mul_i32 s7, s7, s6
	s_mul_hi_u32 s7, s6, s7
	s_delay_alu instid0(SALU_CYCLE_1) | instskip(NEXT) | instid1(SALU_CYCLE_1)
	s_add_i32 s6, s6, s7
	s_mul_hi_u32 s6, s6, 0x300
	s_delay_alu instid0(SALU_CYCLE_1) | instskip(NEXT) | instid1(SALU_CYCLE_1)
	s_mul_i32 s7, s6, s5
	s_sub_i32 s1, 0x300, s7
	s_add_i32 s7, s6, 1
	s_sub_i32 s8, s1, s5
	s_cmp_ge_u32 s1, s5
	s_cselect_b32 s6, s7, s6
	s_cselect_b32 s1, s8, s1
	s_add_i32 s7, s6, 1
	s_cmp_ge_u32 s1, s5
	s_cselect_b32 s1, s7, s6
	s_max_u32 s5, s5, 1
	s_add_i32 s1, s1, 1
	s_waitcnt vmcnt(2)
	v_lshlrev_b16 v1, 8, v1
	s_waitcnt vmcnt(1)
	s_delay_alu instid0(VALU_DEP_1) | instskip(SKIP_1) | instid1(VALU_DEP_2)
	v_or_b32_e32 v2, v2, v1
	v_mad_u32_u24 v1, v0, 3, 1
	v_and_b32_e32 v4, 0xffff, v2
	v_mad_u32_u24 v2, v0, 3, 2
	s_waitcnt vmcnt(0)
	s_delay_alu instid0(VALU_DEP_2)
	v_lshl_or_b32 v4, v3, 16, v4
	v_mad_u32_u24 v3, v0, 3, 3
	s_branch .LBB223_2
.LBB223_1:                              ;   in Loop: Header=BB223_2 Depth=1
	s_or_b32 exec_lo, exec_lo, s6
	v_add_nc_u16 v8, v8, v4
	s_delay_alu instid0(VALU_DEP_2)
	v_add_nc_u16 v6, v9, v6
	v_add_nc_u16 v7, v5, v7
	s_add_i32 s0, s1, s0
	s_add_i32 s5, s5, -1
	v_and_b32_e32 v4, 0xff, v8
	v_lshlrev_b16 v9, 8, v6
	v_and_b32_e32 v10, 0xff, v7
	s_mul_hi_u32 s6, s0, 0xaaaaaaab
	s_delay_alu instid0(SALU_CYCLE_1) | instskip(NEXT) | instid1(VALU_DEP_2)
	s_lshr_b32 s6, s6, 9
	v_or_b32_e32 v4, v4, v9
	s_delay_alu instid0(VALU_DEP_2)
	v_lshlrev_b32_e32 v9, 16, v10
	s_mulk_i32 s6, 0x300
	s_barrier
	s_sub_i32 s0, s0, s6
	v_and_b32_e32 v4, 0xffff, v4
	s_cmp_lg_u32 s5, 0
	buffer_gl0_inv
	v_or_b32_e32 v4, v4, v9
	s_cbranch_scc0 .LBB223_4
.LBB223_2:                              ; =>This Inner Loop Header: Depth=1
	s_delay_alu instid0(VALU_DEP_1)
	v_lshrrev_b32_e32 v6, 8, v4
	v_lshrrev_b32_e32 v7, 16, v4
	s_waitcnt lgkmcnt(0)
	v_cmp_gt_u32_e32 vcc_lo, s0, v1
	v_and_b32_e32 v10, 0xffffff00, v4
	s_mov_b32 s6, exec_lo
	v_sub_nc_u16 v8, v4, v6
	v_sub_nc_u16 v9, v6, v7
	ds_store_b8 v0, v4 offset:256
	s_waitcnt lgkmcnt(0)
	s_barrier
	v_dual_cndmask_b32 v8, v4, v8 :: v_dual_and_b32 v5, 0xff, v5
	v_lshlrev_b16 v9, 8, v9
	v_cmp_gt_u32_e32 vcc_lo, s0, v2
	buffer_gl0_inv
	v_and_b32_e32 v8, 0xff, v8
	s_delay_alu instid0(VALU_DEP_1) | instskip(SKIP_1) | instid1(VALU_DEP_2)
	v_or_b32_e32 v10, v8, v10
	v_or_b32_e32 v8, v8, v9
	v_and_b32_e32 v9, 0xffff, v10
	s_delay_alu instid0(VALU_DEP_2) | instskip(NEXT) | instid1(VALU_DEP_1)
	v_and_b32_e32 v8, 0xffff, v8
	v_dual_cndmask_b32 v8, v9, v8 :: v_dual_lshlrev_b32 v5, 16, v5
	s_delay_alu instid0(VALU_DEP_1) | instskip(NEXT) | instid1(VALU_DEP_1)
	v_or_b32_e32 v5, v8, v5
	v_lshrrev_b32_e32 v9, 8, v5
	v_mov_b32_e32 v5, v7
	v_cmpx_gt_u32_e64 s0, v3
	s_cbranch_execz .LBB223_1
; %bb.3:                                ;   in Loop: Header=BB223_2 Depth=1
	v_and_b32_e32 v5, 0xff, v8
	ds_load_u8 v10, v0 offset:257
	v_lshlrev_b16 v8, 8, v9
	s_delay_alu instid0(VALU_DEP_1) | instskip(NEXT) | instid1(VALU_DEP_1)
	v_or_b32_e32 v5, v5, v8
	v_and_b32_e32 v5, 0xffff, v5
	s_delay_alu instid0(VALU_DEP_1) | instskip(SKIP_2) | instid1(VALU_DEP_2)
	v_and_or_b32 v8, 0xff0000, v4, v5
	s_waitcnt lgkmcnt(0)
	v_sub_nc_u16 v5, v7, v10
	v_lshrrev_b32_e32 v9, 8, v8
	s_branch .LBB223_1
.LBB223_4:
	s_add_u32 s0, s2, s4
	s_addc_u32 s1, s3, 0
	v_add_co_u32 v0, s0, s0, v0
	s_delay_alu instid0(VALU_DEP_1)
	v_add_co_ci_u32_e64 v1, null, s1, 0, s0
	s_clause 0x2
	global_store_b8 v[0:1], v8, off
	global_store_b8 v[0:1], v6, off offset:256
	global_store_b8 v[0:1], v7, off offset:512
	s_nop 0
	s_sendmsg sendmsg(MSG_DEALLOC_VGPRS)
	s_endpgm
	.section	.rodata,"a",@progbits
	.p2align	6, 0x0
	.amdhsa_kernel _Z6kernelI27subtract_right_partial_tileLj256ELj3ELb1EJPaPiS1_jEEvDpT3_
		.amdhsa_group_segment_fixed_size 512
		.amdhsa_private_segment_fixed_size 0
		.amdhsa_kernarg_size 28
		.amdhsa_user_sgpr_count 15
		.amdhsa_user_sgpr_dispatch_ptr 0
		.amdhsa_user_sgpr_queue_ptr 0
		.amdhsa_user_sgpr_kernarg_segment_ptr 1
		.amdhsa_user_sgpr_dispatch_id 0
		.amdhsa_user_sgpr_private_segment_size 0
		.amdhsa_wavefront_size32 1
		.amdhsa_uses_dynamic_stack 0
		.amdhsa_enable_private_segment 0
		.amdhsa_system_sgpr_workgroup_id_x 1
		.amdhsa_system_sgpr_workgroup_id_y 0
		.amdhsa_system_sgpr_workgroup_id_z 0
		.amdhsa_system_sgpr_workgroup_info 0
		.amdhsa_system_vgpr_workitem_id 0
		.amdhsa_next_free_vgpr 11
		.amdhsa_next_free_sgpr 16
		.amdhsa_reserve_vcc 1
		.amdhsa_float_round_mode_32 0
		.amdhsa_float_round_mode_16_64 0
		.amdhsa_float_denorm_mode_32 3
		.amdhsa_float_denorm_mode_16_64 3
		.amdhsa_dx10_clamp 1
		.amdhsa_ieee_mode 1
		.amdhsa_fp16_overflow 0
		.amdhsa_workgroup_processor_mode 1
		.amdhsa_memory_ordered 1
		.amdhsa_forward_progress 0
		.amdhsa_shared_vgpr_count 0
		.amdhsa_exception_fp_ieee_invalid_op 0
		.amdhsa_exception_fp_denorm_src 0
		.amdhsa_exception_fp_ieee_div_zero 0
		.amdhsa_exception_fp_ieee_overflow 0
		.amdhsa_exception_fp_ieee_underflow 0
		.amdhsa_exception_fp_ieee_inexact 0
		.amdhsa_exception_int_div_zero 0
	.end_amdhsa_kernel
	.section	.text._Z6kernelI27subtract_right_partial_tileLj256ELj3ELb1EJPaPiS1_jEEvDpT3_,"axG",@progbits,_Z6kernelI27subtract_right_partial_tileLj256ELj3ELb1EJPaPiS1_jEEvDpT3_,comdat
.Lfunc_end223:
	.size	_Z6kernelI27subtract_right_partial_tileLj256ELj3ELb1EJPaPiS1_jEEvDpT3_, .Lfunc_end223-_Z6kernelI27subtract_right_partial_tileLj256ELj3ELb1EJPaPiS1_jEEvDpT3_
                                        ; -- End function
	.section	.AMDGPU.csdata,"",@progbits
; Kernel info:
; codeLenInByte = 748
; NumSgprs: 18
; NumVgprs: 11
; ScratchSize: 0
; MemoryBound: 0
; FloatMode: 240
; IeeeMode: 1
; LDSByteSize: 512 bytes/workgroup (compile time only)
; SGPRBlocks: 2
; VGPRBlocks: 1
; NumSGPRsForWavesPerEU: 18
; NumVGPRsForWavesPerEU: 11
; Occupancy: 16
; WaveLimiterHint : 1
; COMPUTE_PGM_RSRC2:SCRATCH_EN: 0
; COMPUTE_PGM_RSRC2:USER_SGPR: 15
; COMPUTE_PGM_RSRC2:TRAP_HANDLER: 0
; COMPUTE_PGM_RSRC2:TGID_X_EN: 1
; COMPUTE_PGM_RSRC2:TGID_Y_EN: 0
; COMPUTE_PGM_RSRC2:TGID_Z_EN: 0
; COMPUTE_PGM_RSRC2:TIDIG_COMP_CNT: 0
	.section	.text._Z6kernelI27subtract_right_partial_tileLj256ELj4ELb1EJPaPiS1_jEEvDpT3_,"axG",@progbits,_Z6kernelI27subtract_right_partial_tileLj256ELj4ELb1EJPaPiS1_jEEvDpT3_,comdat
	.protected	_Z6kernelI27subtract_right_partial_tileLj256ELj4ELb1EJPaPiS1_jEEvDpT3_ ; -- Begin function _Z6kernelI27subtract_right_partial_tileLj256ELj4ELb1EJPaPiS1_jEEvDpT3_
	.globl	_Z6kernelI27subtract_right_partial_tileLj256ELj4ELb1EJPaPiS1_jEEvDpT3_
	.p2align	8
	.type	_Z6kernelI27subtract_right_partial_tileLj256ELj4ELb1EJPaPiS1_jEEvDpT3_,@function
_Z6kernelI27subtract_right_partial_tileLj256ELj4ELb1EJPaPiS1_jEEvDpT3_: ; @_Z6kernelI27subtract_right_partial_tileLj256ELj4ELb1EJPaPiS1_jEEvDpT3_
; %bb.0:
	s_clause 0x1
	s_load_b128 s[8:11], s[0:1], 0x0
	s_load_b64 s[2:3], s[0:1], 0x10
	s_lshl_b32 s4, s15, 10
	s_load_b32 s5, s[0:1], 0x18
	s_mov_b32 s6, s15
	s_mov_b32 s7, 0
	v_lshlrev_b32_e32 v6, 2, v0
	s_waitcnt lgkmcnt(0)
	s_add_u32 s8, s8, s4
	s_addc_u32 s9, s9, 0
	s_clause 0x3
	global_load_u8 v2, v0, s[8:9] offset:256
	global_load_u8 v3, v0, s[8:9] offset:768
	global_load_u8 v4, v0, s[8:9]
	global_load_u8 v5, v0, s[8:9] offset:512
	v_cvt_f32_u32_e32 v1, s5
	s_lshl_b64 s[0:1], s[6:7], 2
	s_delay_alu instid0(SALU_CYCLE_1) | instskip(SKIP_1) | instid1(VALU_DEP_1)
	s_add_u32 s0, s10, s0
	s_addc_u32 s1, s11, s1
	v_rcp_iflag_f32_e32 v1, v1
	s_sub_i32 s7, 0, s5
	s_load_b32 s0, s[0:1], 0x0
	s_waitcnt_depctr 0xfff
	v_mul_f32_e32 v1, 0x4f7ffffe, v1
	s_delay_alu instid0(VALU_DEP_1) | instskip(NEXT) | instid1(VALU_DEP_1)
	v_cvt_u32_f32_e32 v1, v1
	v_readfirstlane_b32 s6, v1
	v_or_b32_e32 v1, 1, v6
	s_delay_alu instid0(VALU_DEP_2) | instskip(NEXT) | instid1(SALU_CYCLE_1)
	s_mul_i32 s7, s7, s6
	s_mul_hi_u32 s7, s6, s7
	s_delay_alu instid0(SALU_CYCLE_1) | instskip(NEXT) | instid1(SALU_CYCLE_1)
	s_add_i32 s6, s6, s7
	s_lshr_b32 s6, s6, 22
	s_delay_alu instid0(SALU_CYCLE_1) | instskip(NEXT) | instid1(SALU_CYCLE_1)
	s_mul_i32 s7, s6, s5
	s_sub_i32 s1, 0x400, s7
	s_add_i32 s7, s6, 1
	s_sub_i32 s8, s1, s5
	s_cmp_ge_u32 s1, s5
	s_cselect_b32 s6, s7, s6
	s_cselect_b32 s1, s8, s1
	s_add_i32 s7, s6, 1
	s_cmp_ge_u32 s1, s5
	s_cselect_b32 s1, s7, s6
	s_max_u32 s5, s5, 1
	s_add_i32 s1, s1, 1
	s_waitcnt vmcnt(3)
	v_lshlrev_b16 v2, 8, v2
	s_waitcnt vmcnt(2)
	v_lshlrev_b16 v3, 8, v3
	s_waitcnt vmcnt(1)
	s_delay_alu instid0(VALU_DEP_2) | instskip(SKIP_1) | instid1(VALU_DEP_2)
	v_or_b32_e32 v4, v4, v2
	s_waitcnt vmcnt(0)
	v_or_b32_e32 v3, v5, v3
	v_or_b32_e32 v2, 2, v6
	s_delay_alu instid0(VALU_DEP_3) | instskip(NEXT) | instid1(VALU_DEP_3)
	v_and_b32_e32 v4, 0xffff, v4
	v_lshlrev_b32_e32 v5, 16, v3
	v_or_b32_e32 v3, 3, v6
	s_delay_alu instid0(VALU_DEP_2)
	v_or_b32_e32 v5, v4, v5
	v_add_nc_u32_e32 v4, 4, v6
                                        ; implicit-def: $vgpr6
	s_branch .LBB224_2
.LBB224_1:                              ;   in Loop: Header=BB224_2 Depth=1
	s_or_b32 exec_lo, exec_lo, s6
	v_add_nc_u16 v11, v11, v5
	s_delay_alu instid0(VALU_DEP_2)
	v_add_nc_u16 v7, v13, v7
	v_add_nc_u16 v9, v10, v9
	;; [unrolled: 1-line block ×3, first 2 shown]
	s_add_i32 s0, s1, s0
	v_and_b32_e32 v5, 0xff, v11
	v_lshlrev_b16 v10, 8, v7
	v_and_b32_e32 v12, 0xff, v9
	v_lshlrev_b16 v13, 8, v8
	s_add_i32 s5, s5, -1
	s_and_b32 s0, s0, 0x3ff
	v_or_b32_e32 v5, v5, v10
	s_cmp_lg_u32 s5, 0
	v_or_b32_e32 v10, v12, v13
	s_barrier
	s_delay_alu instid0(VALU_DEP_2) | instskip(SKIP_2) | instid1(VALU_DEP_1)
	v_and_b32_e32 v5, 0xffff, v5
	buffer_gl0_inv
	v_lshlrev_b32_e32 v10, 16, v10
	v_or_b32_e32 v5, v5, v10
	s_cbranch_scc0 .LBB224_4
.LBB224_2:                              ; =>This Inner Loop Header: Depth=1
	s_delay_alu instid0(VALU_DEP_1)
	v_lshrrev_b32_e32 v7, 8, v5
	v_lshrrev_b32_e32 v9, 16, v5
	;; [unrolled: 1-line block ×3, first 2 shown]
	s_waitcnt lgkmcnt(0)
	v_cmp_gt_u32_e32 vcc_lo, s0, v1
	v_and_b32_e32 v12, 0xffffff00, v5
	v_sub_nc_u16 v10, v5, v7
	v_sub_nc_u16 v11, v7, v9
	;; [unrolled: 1-line block ×3, first 2 shown]
	v_lshlrev_b16 v6, 8, v6
	v_and_b32_e32 v14, 0xff, v9
	v_cndmask_b32_e32 v10, v5, v10, vcc_lo
	v_lshlrev_b16 v11, 8, v11
	v_and_b32_e32 v13, 0xff, v13
	v_cmp_gt_u32_e32 vcc_lo, s0, v3
	s_mov_b32 s6, exec_lo
	v_and_b32_e32 v10, 0xff, v10
	ds_store_b8 v0, v5 offset:256
	s_waitcnt lgkmcnt(0)
	s_barrier
	buffer_gl0_inv
	v_or_b32_e32 v12, v10, v12
	v_or_b32_e32 v10, v10, v11
	;; [unrolled: 1-line block ×4, first 2 shown]
	s_delay_alu instid0(VALU_DEP_4) | instskip(NEXT) | instid1(VALU_DEP_4)
	v_and_b32_e32 v12, 0xffff, v12
	v_and_b32_e32 v13, 0xffff, v10
	s_delay_alu instid0(VALU_DEP_3) | instskip(SKIP_2) | instid1(VALU_DEP_4)
	v_cndmask_b32_e32 v10, v11, v6, vcc_lo
	v_mov_b32_e32 v6, v8
	v_cmp_gt_u32_e32 vcc_lo, s0, v2
	v_cndmask_b32_e32 v11, v12, v13, vcc_lo
	s_delay_alu instid0(VALU_DEP_1) | instskip(NEXT) | instid1(VALU_DEP_1)
	v_lshl_or_b32 v12, v10, 16, v11
	v_lshrrev_b32_e32 v13, 8, v12
	v_cmpx_gt_u32_e64 s0, v4
	s_cbranch_execz .LBB224_1
; %bb.3:                                ;   in Loop: Header=BB224_2 Depth=1
	v_and_b32_e32 v6, 0xffffff00, v9
	v_and_b32_e32 v10, 0xff, v10
	ds_load_u8 v13, v0 offset:257
	v_or_b32_e32 v6, v10, v6
	s_delay_alu instid0(VALU_DEP_1) | instskip(NEXT) | instid1(VALU_DEP_1)
	v_lshlrev_b32_e32 v6, 16, v6
	v_and_or_b32 v11, 0xffff, v12, v6
	s_delay_alu instid0(VALU_DEP_1)
	v_lshrrev_b32_e32 v10, 16, v11
	s_waitcnt lgkmcnt(0)
	v_sub_nc_u16 v6, v8, v13
	v_lshrrev_b32_e32 v13, 8, v11
	s_branch .LBB224_1
.LBB224_4:
	s_add_u32 s0, s2, s4
	s_addc_u32 s1, s3, 0
	v_add_co_u32 v0, s0, s0, v0
	s_delay_alu instid0(VALU_DEP_1)
	v_add_co_ci_u32_e64 v1, null, s1, 0, s0
	s_clause 0x3
	global_store_b8 v[0:1], v11, off
	global_store_b8 v[0:1], v7, off offset:256
	global_store_b8 v[0:1], v9, off offset:512
	;; [unrolled: 1-line block ×3, first 2 shown]
	s_nop 0
	s_sendmsg sendmsg(MSG_DEALLOC_VGPRS)
	s_endpgm
	.section	.rodata,"a",@progbits
	.p2align	6, 0x0
	.amdhsa_kernel _Z6kernelI27subtract_right_partial_tileLj256ELj4ELb1EJPaPiS1_jEEvDpT3_
		.amdhsa_group_segment_fixed_size 512
		.amdhsa_private_segment_fixed_size 0
		.amdhsa_kernarg_size 28
		.amdhsa_user_sgpr_count 15
		.amdhsa_user_sgpr_dispatch_ptr 0
		.amdhsa_user_sgpr_queue_ptr 0
		.amdhsa_user_sgpr_kernarg_segment_ptr 1
		.amdhsa_user_sgpr_dispatch_id 0
		.amdhsa_user_sgpr_private_segment_size 0
		.amdhsa_wavefront_size32 1
		.amdhsa_uses_dynamic_stack 0
		.amdhsa_enable_private_segment 0
		.amdhsa_system_sgpr_workgroup_id_x 1
		.amdhsa_system_sgpr_workgroup_id_y 0
		.amdhsa_system_sgpr_workgroup_id_z 0
		.amdhsa_system_sgpr_workgroup_info 0
		.amdhsa_system_vgpr_workitem_id 0
		.amdhsa_next_free_vgpr 15
		.amdhsa_next_free_sgpr 16
		.amdhsa_reserve_vcc 1
		.amdhsa_float_round_mode_32 0
		.amdhsa_float_round_mode_16_64 0
		.amdhsa_float_denorm_mode_32 3
		.amdhsa_float_denorm_mode_16_64 3
		.amdhsa_dx10_clamp 1
		.amdhsa_ieee_mode 1
		.amdhsa_fp16_overflow 0
		.amdhsa_workgroup_processor_mode 1
		.amdhsa_memory_ordered 1
		.amdhsa_forward_progress 0
		.amdhsa_shared_vgpr_count 0
		.amdhsa_exception_fp_ieee_invalid_op 0
		.amdhsa_exception_fp_denorm_src 0
		.amdhsa_exception_fp_ieee_div_zero 0
		.amdhsa_exception_fp_ieee_overflow 0
		.amdhsa_exception_fp_ieee_underflow 0
		.amdhsa_exception_fp_ieee_inexact 0
		.amdhsa_exception_int_div_zero 0
	.end_amdhsa_kernel
	.section	.text._Z6kernelI27subtract_right_partial_tileLj256ELj4ELb1EJPaPiS1_jEEvDpT3_,"axG",@progbits,_Z6kernelI27subtract_right_partial_tileLj256ELj4ELb1EJPaPiS1_jEEvDpT3_,comdat
.Lfunc_end224:
	.size	_Z6kernelI27subtract_right_partial_tileLj256ELj4ELb1EJPaPiS1_jEEvDpT3_, .Lfunc_end224-_Z6kernelI27subtract_right_partial_tileLj256ELj4ELb1EJPaPiS1_jEEvDpT3_
                                        ; -- End function
	.section	.AMDGPU.csdata,"",@progbits
; Kernel info:
; codeLenInByte = 824
; NumSgprs: 18
; NumVgprs: 15
; ScratchSize: 0
; MemoryBound: 0
; FloatMode: 240
; IeeeMode: 1
; LDSByteSize: 512 bytes/workgroup (compile time only)
; SGPRBlocks: 2
; VGPRBlocks: 1
; NumSGPRsForWavesPerEU: 18
; NumVGPRsForWavesPerEU: 15
; Occupancy: 16
; WaveLimiterHint : 1
; COMPUTE_PGM_RSRC2:SCRATCH_EN: 0
; COMPUTE_PGM_RSRC2:USER_SGPR: 15
; COMPUTE_PGM_RSRC2:TRAP_HANDLER: 0
; COMPUTE_PGM_RSRC2:TGID_X_EN: 1
; COMPUTE_PGM_RSRC2:TGID_Y_EN: 0
; COMPUTE_PGM_RSRC2:TGID_Z_EN: 0
; COMPUTE_PGM_RSRC2:TIDIG_COMP_CNT: 0
	.section	.text._Z6kernelI27subtract_right_partial_tileLj256ELj8ELb1EJPaPiS1_jEEvDpT3_,"axG",@progbits,_Z6kernelI27subtract_right_partial_tileLj256ELj8ELb1EJPaPiS1_jEEvDpT3_,comdat
	.protected	_Z6kernelI27subtract_right_partial_tileLj256ELj8ELb1EJPaPiS1_jEEvDpT3_ ; -- Begin function _Z6kernelI27subtract_right_partial_tileLj256ELj8ELb1EJPaPiS1_jEEvDpT3_
	.globl	_Z6kernelI27subtract_right_partial_tileLj256ELj8ELb1EJPaPiS1_jEEvDpT3_
	.p2align	8
	.type	_Z6kernelI27subtract_right_partial_tileLj256ELj8ELb1EJPaPiS1_jEEvDpT3_,@function
_Z6kernelI27subtract_right_partial_tileLj256ELj8ELb1EJPaPiS1_jEEvDpT3_: ; @_Z6kernelI27subtract_right_partial_tileLj256ELj8ELb1EJPaPiS1_jEEvDpT3_
; %bb.0:
	s_clause 0x1
	s_load_b128 s[4:7], s[0:1], 0x0
	s_load_b64 s[2:3], s[0:1], 0x10
	s_lshl_b32 s8, s15, 11
	s_mov_b32 s10, s15
	s_mov_b32 s11, 0
                                        ; implicit-def: $vgpr17
	v_lshlrev_b32_e32 v16, 3, v0
	s_delay_alu instid0(VALU_DEP_1)
	v_or_b32_e32 v3, 3, v16
	v_or_b32_e32 v4, 4, v16
	;; [unrolled: 1-line block ×5, first 2 shown]
	s_waitcnt lgkmcnt(0)
	s_add_u32 s4, s4, s8
	s_addc_u32 s5, s5, 0
	s_clause 0x7
	global_load_u8 v8, v0, s[4:5] offset:256
	global_load_u8 v9, v0, s[4:5] offset:768
	;; [unrolled: 1-line block ×4, first 2 shown]
	global_load_u8 v12, v0, s[4:5]
	global_load_u8 v13, v0, s[4:5] offset:512
	global_load_u8 v14, v0, s[4:5] offset:1024
	;; [unrolled: 1-line block ×3, first 2 shown]
	s_load_b32 s4, s[0:1], 0x18
	s_lshl_b64 s[0:1], s[10:11], 2
	s_delay_alu instid0(SALU_CYCLE_1)
	s_add_u32 s0, s6, s0
	s_addc_u32 s1, s7, s1
	s_load_b32 s0, s[0:1], 0x0
	s_waitcnt lgkmcnt(0)
	v_cvt_f32_u32_e32 v1, s4
	s_sub_i32 s6, 0, s4
	s_delay_alu instid0(VALU_DEP_1) | instskip(SKIP_2) | instid1(VALU_DEP_1)
	v_rcp_iflag_f32_e32 v1, v1
	s_waitcnt_depctr 0xfff
	v_mul_f32_e32 v1, 0x4f7ffffe, v1
	v_cvt_u32_f32_e32 v2, v1
	v_or_b32_e32 v1, 1, v16
	s_delay_alu instid0(VALU_DEP_2) | instskip(SKIP_1) | instid1(VALU_DEP_2)
	v_readfirstlane_b32 s5, v2
	v_or_b32_e32 v2, 2, v16
	s_mul_i32 s6, s6, s5
	s_delay_alu instid0(SALU_CYCLE_1) | instskip(NEXT) | instid1(SALU_CYCLE_1)
	s_mul_hi_u32 s6, s5, s6
	s_add_i32 s5, s5, s6
	s_delay_alu instid0(SALU_CYCLE_1) | instskip(NEXT) | instid1(SALU_CYCLE_1)
	s_lshr_b32 s5, s5, 21
	s_mul_i32 s6, s5, s4
	s_add_i32 s7, s5, 1
	s_sub_i32 s6, 0x800, s6
	s_delay_alu instid0(SALU_CYCLE_1)
	s_sub_i32 s9, s6, s4
	s_cmp_ge_u32 s6, s4
	s_cselect_b32 s1, s7, s5
	s_cselect_b32 s5, s9, s6
	s_add_i32 s6, s1, 1
	s_cmp_ge_u32 s5, s4
	s_cselect_b32 s1, s6, s1
	s_max_u32 s4, s4, 1
	s_add_i32 s1, s1, 1
	s_waitcnt vmcnt(7)
	v_lshlrev_b16 v8, 8, v8
	s_waitcnt vmcnt(6)
	v_lshlrev_b16 v9, 8, v9
	;; [unrolled: 2-line block ×4, first 2 shown]
	s_waitcnt vmcnt(3)
	v_or_b32_e32 v8, v12, v8
	s_waitcnt vmcnt(2)
	v_or_b32_e32 v9, v13, v9
	;; [unrolled: 2-line block ×4, first 2 shown]
                                        ; implicit-def: $vgpr14
	v_and_b32_e32 v12, 0xffff, v8
	v_lshlrev_b32_e32 v9, 16, v9
	v_and_b32_e32 v13, 0xffff, v10
	s_delay_alu instid0(VALU_DEP_4) | instskip(SKIP_1) | instid1(VALU_DEP_4)
	v_lshlrev_b32_e32 v11, 16, v11
	v_add_nc_u32_e32 v8, 8, v16
                                        ; implicit-def: $vgpr16
	v_or_b32_e32 v10, v12, v9
	s_delay_alu instid0(VALU_DEP_3)
	v_or_b32_e32 v9, v13, v11
	s_branch .LBB225_2
.LBB225_1:                              ;   in Loop: Header=BB225_2 Depth=1
	s_or_b32 exec_lo, exec_lo, s5
	v_lshrrev_b32_e32 v20, 8, v19
	v_lshrrev_b32_e32 v22, 16, v19
	;; [unrolled: 1-line block ×3, first 2 shown]
	v_add_nc_u16 v18, v19, v10
	v_lshrrev_b32_e32 v10, 24, v19
	v_add_nc_u16 v19, v20, v17
	v_lshrrev_b32_e32 v17, 8, v21
	;; [unrolled: 2-line block ×3, first 2 shown]
	v_add_nc_u16 v13, v10, v13
	v_add_nc_u16 v21, v21, v9
	;; [unrolled: 1-line block ×5, first 2 shown]
	v_and_b32_e32 v9, 0xff, v18
	v_lshlrev_b16 v10, 8, v19
	v_lshlrev_b16 v22, 8, v13
	v_and_b32_e32 v23, 0xff, v20
	v_and_b32_e32 v24, 0xff, v21
	v_lshlrev_b16 v25, 8, v11
	v_lshlrev_b16 v26, 8, v15
	v_and_b32_e32 v27, 0xff, v12
	v_or_b32_e32 v9, v9, v10
	v_or_b32_e32 v10, v23, v22
	;; [unrolled: 1-line block ×3, first 2 shown]
	s_add_i32 s0, s1, s0
	v_or_b32_e32 v23, v27, v26
	v_and_b32_e32 v9, 0xffff, v9
	v_lshlrev_b32_e32 v10, 16, v10
	v_and_b32_e32 v22, 0xffff, v22
	s_add_i32 s4, s4, -1
	v_lshlrev_b32_e32 v23, 16, v23
	s_and_b32 s0, s0, 0x7ff
	v_or_b32_e32 v10, v9, v10
	s_cmp_lg_u32 s4, 0
	s_delay_alu instid0(VALU_DEP_2)
	v_or_b32_e32 v9, v22, v23
	s_barrier
	buffer_gl0_inv
	s_cbranch_scc0 .LBB225_4
.LBB225_2:                              ; =>This Inner Loop Header: Depth=1
	s_delay_alu instid0(VALU_DEP_1)
	v_lshrrev_b32_e32 v11, 8, v9
	v_and_b32_e32 v13, 0xff, v9
	v_lshlrev_b16 v14, 8, v14
	v_cmp_gt_u32_e32 vcc_lo, s0, v5
	v_and_b32_e32 v15, 0xff, v16
	v_sub_nc_u16 v12, v9, v11
	v_lshlrev_b16 v16, 8, v17
	v_and_b32_e32 v18, 0xffffff00, v9
	s_mov_b32 s5, exec_lo
	v_or_b32_e32 v14, v15, v14
	v_and_b32_e32 v12, 0xff, v12
	v_or_b32_e32 v13, v13, v16
	ds_store_b8 v0, v10 offset:256
	s_waitcnt lgkmcnt(0)
	v_lshlrev_b32_e32 v14, 16, v14
	v_or_b32_e32 v12, v12, v16
	v_and_b32_e32 v13, 0xffff, v13
	s_barrier
	buffer_gl0_inv
	v_and_b32_e32 v15, 0xffff, v12
	v_lshrrev_b32_e32 v12, 16, v9
	v_or_b32_e32 v13, v13, v14
	s_delay_alu instid0(VALU_DEP_3) | instskip(NEXT) | instid1(VALU_DEP_3)
	v_or_b32_e32 v14, v15, v14
	v_sub_nc_u16 v15, v11, v12
	s_delay_alu instid0(VALU_DEP_2) | instskip(NEXT) | instid1(VALU_DEP_2)
	v_cndmask_b32_e32 v16, v13, v14, vcc_lo
	v_lshlrev_b16 v15, 8, v15
	v_cmp_gt_u32_e32 vcc_lo, s0, v6
	v_lshrrev_b32_e32 v14, 16, v10
	v_lshrrev_b32_e32 v13, 24, v10
	v_and_b32_e32 v17, 0xff, v16
	v_and_b32_e32 v16, 0xffff0000, v16
	s_delay_alu instid0(VALU_DEP_4) | instskip(NEXT) | instid1(VALU_DEP_4)
	v_and_b32_e32 v21, 0xffffff00, v14
	v_sub_nc_u16 v22, v14, v13
	s_delay_alu instid0(VALU_DEP_4) | instskip(SKIP_3) | instid1(VALU_DEP_4)
	v_or_b32_e32 v15, v17, v15
	v_or_b32_e32 v18, v17, v18
	v_lshrrev_b32_e32 v17, 8, v10
	v_sub_nc_u16 v24, v13, v9
	v_and_b32_e32 v20, 0xffff, v15
	s_delay_alu instid0(VALU_DEP_4)
	v_and_b32_e32 v18, 0xffff, v18
	v_lshrrev_b32_e32 v15, 24, v9
	v_sub_nc_u16 v23, v17, v14
	v_lshlrev_b16 v24, 8, v24
	v_or_b32_e32 v20, v20, v16
	v_or_b32_e32 v16, v18, v16
	v_sub_nc_u16 v18, v10, v17
	v_sub_nc_u16 v25, v12, v15
	v_lshlrev_b16 v23, 8, v23
	s_delay_alu instid0(VALU_DEP_4) | instskip(SKIP_3) | instid1(VALU_DEP_4)
	v_cndmask_b32_e32 v16, v16, v20, vcc_lo
	v_and_b32_e32 v20, 0xff, v12
	v_cmp_gt_u32_e32 vcc_lo, s0, v3
	v_and_b32_e32 v25, 0xff, v25
	v_lshrrev_b32_e32 v26, 16, v16
	v_and_b32_e32 v16, 0xffff, v16
	v_cndmask_b32_e32 v22, v14, v22, vcc_lo
	v_cmp_gt_u32_e32 vcc_lo, s0, v1
	s_delay_alu instid0(VALU_DEP_4) | instskip(NEXT) | instid1(VALU_DEP_3)
	v_and_b32_e32 v26, 0xffffff00, v26
	v_and_b32_e32 v22, 0xff, v22
	v_cndmask_b32_e32 v18, v10, v18, vcc_lo
	v_cmp_gt_u32_e32 vcc_lo, s0, v4
	s_delay_alu instid0(VALU_DEP_4) | instskip(SKIP_4) | instid1(VALU_DEP_1)
	v_or_b32_e32 v20, v20, v26
	v_or_b32_e32 v25, v25, v26
	;; [unrolled: 1-line block ×3, first 2 shown]
	v_and_b32_e32 v18, 0xff, v18
	v_or_b32_e32 v22, v22, v24
	v_dual_cndmask_b32 v21, v21, v22 :: v_dual_lshlrev_b32 v20, 16, v20
	s_delay_alu instid0(VALU_DEP_1) | instskip(SKIP_2) | instid1(VALU_DEP_2)
	v_or_b32_e32 v20, v16, v20
	v_and_b32_e32 v19, 0xffffff00, v10
	v_cmp_gt_u32_e32 vcc_lo, s0, v2
	v_or_b32_e32 v19, v18, v19
	v_or_b32_e32 v18, v18, v23
	v_lshlrev_b32_e32 v23, 16, v25
	s_delay_alu instid0(VALU_DEP_3) | instskip(NEXT) | instid1(VALU_DEP_3)
	v_and_b32_e32 v19, 0xffff, v19
	v_and_b32_e32 v18, 0xffff, v18
	s_delay_alu instid0(VALU_DEP_3) | instskip(NEXT) | instid1(VALU_DEP_2)
	v_or_b32_e32 v16, v16, v23
	v_cndmask_b32_e32 v18, v19, v18, vcc_lo
	v_cmp_gt_u32_e32 vcc_lo, s0, v7
	s_delay_alu instid0(VALU_DEP_2) | instskip(NEXT) | instid1(VALU_DEP_4)
	v_lshl_or_b32 v19, v21, 16, v18
	v_cndmask_b32_e32 v16, v20, v16, vcc_lo
	s_delay_alu instid0(VALU_DEP_1)
	v_perm_b32 v21, v16, v9, 0x3060504
	v_cmpx_gt_u32_e64 s0, v8
	s_cbranch_execz .LBB225_1
; %bb.3:                                ;   in Loop: Header=BB225_2 Depth=1
	ds_load_u8 v16, v0 offset:257
	v_lshrrev_b32_e32 v18, 8, v21
	v_lshrrev_b32_e32 v20, 16, v21
	v_and_b32_e32 v21, 0xff, v21
	v_perm_b32 v19, v19, v19, 0x3020104
	s_delay_alu instid0(VALU_DEP_4) | instskip(NEXT) | instid1(VALU_DEP_4)
	v_lshlrev_b16 v18, 8, v18
	v_and_b32_e32 v20, 0xff, v20
	s_delay_alu instid0(VALU_DEP_2) | instskip(NEXT) | instid1(VALU_DEP_1)
	v_or_b32_e32 v18, v21, v18
	v_and_b32_e32 v18, 0xffff, v18
	s_waitcnt lgkmcnt(0)
	v_sub_nc_u16 v16, v15, v16
	s_delay_alu instid0(VALU_DEP_1) | instskip(NEXT) | instid1(VALU_DEP_1)
	v_lshlrev_b16 v16, 8, v16
	v_or_b32_e32 v16, v20, v16
	s_delay_alu instid0(VALU_DEP_1) | instskip(NEXT) | instid1(VALU_DEP_1)
	v_lshlrev_b32_e32 v16, 16, v16
	v_or_b32_e32 v21, v18, v16
	s_branch .LBB225_1
.LBB225_4:
	s_add_u32 s0, s2, s8
	s_addc_u32 s1, s3, 0
	v_add_co_u32 v0, s0, s0, v0
	s_delay_alu instid0(VALU_DEP_1)
	v_add_co_ci_u32_e64 v1, null, s1, 0, s0
	s_clause 0x7
	global_store_b8 v[0:1], v18, off
	global_store_b8 v[0:1], v19, off offset:256
	global_store_b8 v[0:1], v20, off offset:512
	;; [unrolled: 1-line block ×7, first 2 shown]
	s_nop 0
	s_sendmsg sendmsg(MSG_DEALLOC_VGPRS)
	s_endpgm
	.section	.rodata,"a",@progbits
	.p2align	6, 0x0
	.amdhsa_kernel _Z6kernelI27subtract_right_partial_tileLj256ELj8ELb1EJPaPiS1_jEEvDpT3_
		.amdhsa_group_segment_fixed_size 512
		.amdhsa_private_segment_fixed_size 0
		.amdhsa_kernarg_size 28
		.amdhsa_user_sgpr_count 15
		.amdhsa_user_sgpr_dispatch_ptr 0
		.amdhsa_user_sgpr_queue_ptr 0
		.amdhsa_user_sgpr_kernarg_segment_ptr 1
		.amdhsa_user_sgpr_dispatch_id 0
		.amdhsa_user_sgpr_private_segment_size 0
		.amdhsa_wavefront_size32 1
		.amdhsa_uses_dynamic_stack 0
		.amdhsa_enable_private_segment 0
		.amdhsa_system_sgpr_workgroup_id_x 1
		.amdhsa_system_sgpr_workgroup_id_y 0
		.amdhsa_system_sgpr_workgroup_id_z 0
		.amdhsa_system_sgpr_workgroup_info 0
		.amdhsa_system_vgpr_workitem_id 0
		.amdhsa_next_free_vgpr 28
		.amdhsa_next_free_sgpr 16
		.amdhsa_reserve_vcc 1
		.amdhsa_float_round_mode_32 0
		.amdhsa_float_round_mode_16_64 0
		.amdhsa_float_denorm_mode_32 3
		.amdhsa_float_denorm_mode_16_64 3
		.amdhsa_dx10_clamp 1
		.amdhsa_ieee_mode 1
		.amdhsa_fp16_overflow 0
		.amdhsa_workgroup_processor_mode 1
		.amdhsa_memory_ordered 1
		.amdhsa_forward_progress 0
		.amdhsa_shared_vgpr_count 0
		.amdhsa_exception_fp_ieee_invalid_op 0
		.amdhsa_exception_fp_denorm_src 0
		.amdhsa_exception_fp_ieee_div_zero 0
		.amdhsa_exception_fp_ieee_overflow 0
		.amdhsa_exception_fp_ieee_underflow 0
		.amdhsa_exception_fp_ieee_inexact 0
		.amdhsa_exception_int_div_zero 0
	.end_amdhsa_kernel
	.section	.text._Z6kernelI27subtract_right_partial_tileLj256ELj8ELb1EJPaPiS1_jEEvDpT3_,"axG",@progbits,_Z6kernelI27subtract_right_partial_tileLj256ELj8ELb1EJPaPiS1_jEEvDpT3_,comdat
.Lfunc_end225:
	.size	_Z6kernelI27subtract_right_partial_tileLj256ELj8ELb1EJPaPiS1_jEEvDpT3_, .Lfunc_end225-_Z6kernelI27subtract_right_partial_tileLj256ELj8ELb1EJPaPiS1_jEEvDpT3_
                                        ; -- End function
	.section	.AMDGPU.csdata,"",@progbits
; Kernel info:
; codeLenInByte = 1436
; NumSgprs: 18
; NumVgprs: 28
; ScratchSize: 0
; MemoryBound: 0
; FloatMode: 240
; IeeeMode: 1
; LDSByteSize: 512 bytes/workgroup (compile time only)
; SGPRBlocks: 2
; VGPRBlocks: 3
; NumSGPRsForWavesPerEU: 18
; NumVGPRsForWavesPerEU: 28
; Occupancy: 16
; WaveLimiterHint : 1
; COMPUTE_PGM_RSRC2:SCRATCH_EN: 0
; COMPUTE_PGM_RSRC2:USER_SGPR: 15
; COMPUTE_PGM_RSRC2:TRAP_HANDLER: 0
; COMPUTE_PGM_RSRC2:TGID_X_EN: 1
; COMPUTE_PGM_RSRC2:TGID_Y_EN: 0
; COMPUTE_PGM_RSRC2:TGID_Z_EN: 0
; COMPUTE_PGM_RSRC2:TIDIG_COMP_CNT: 0
	.section	.text._Z6kernelI27subtract_right_partial_tileLj256ELj16ELb1EJPaPiS1_jEEvDpT3_,"axG",@progbits,_Z6kernelI27subtract_right_partial_tileLj256ELj16ELb1EJPaPiS1_jEEvDpT3_,comdat
	.protected	_Z6kernelI27subtract_right_partial_tileLj256ELj16ELb1EJPaPiS1_jEEvDpT3_ ; -- Begin function _Z6kernelI27subtract_right_partial_tileLj256ELj16ELb1EJPaPiS1_jEEvDpT3_
	.globl	_Z6kernelI27subtract_right_partial_tileLj256ELj16ELb1EJPaPiS1_jEEvDpT3_
	.p2align	8
	.type	_Z6kernelI27subtract_right_partial_tileLj256ELj16ELb1EJPaPiS1_jEEvDpT3_,@function
_Z6kernelI27subtract_right_partial_tileLj256ELj16ELb1EJPaPiS1_jEEvDpT3_: ; @_Z6kernelI27subtract_right_partial_tileLj256ELj16ELb1EJPaPiS1_jEEvDpT3_
; %bb.0:
	s_clause 0x1
	s_load_b128 s[4:7], s[0:1], 0x0
	s_load_b64 s[2:3], s[0:1], 0x10
	s_lshl_b32 s8, s15, 12
	s_mov_b32 s10, s15
	s_mov_b32 s11, 0
	v_lshlrev_b32_e32 v16, 4, v0
                                        ; implicit-def: $vgpr34
                                        ; implicit-def: $vgpr36
                                        ; implicit-def: $vgpr33
	s_delay_alu instid0(VALU_DEP_1)
	v_or_b32_e32 v2, 2, v16
	v_or_b32_e32 v3, 3, v16
	;; [unrolled: 1-line block ×10, first 2 shown]
	s_waitcnt lgkmcnt(0)
	s_add_u32 s4, s4, s8
	s_addc_u32 s5, s5, 0
	v_or_b32_e32 v15, 15, v16
	s_clause 0xf
	global_load_u8 v17, v0, s[4:5] offset:256
	global_load_u8 v18, v0, s[4:5] offset:768
	;; [unrolled: 1-line block ×8, first 2 shown]
	global_load_u8 v25, v0, s[4:5]
	global_load_u8 v26, v0, s[4:5] offset:512
	global_load_u8 v27, v0, s[4:5] offset:1024
	;; [unrolled: 1-line block ×7, first 2 shown]
	s_load_b32 s4, s[0:1], 0x18
	s_lshl_b64 s[0:1], s[10:11], 2
	s_delay_alu instid0(SALU_CYCLE_1)
	s_add_u32 s0, s6, s0
	s_addc_u32 s1, s7, s1
	s_load_b32 s0, s[0:1], 0x0
	s_waitcnt lgkmcnt(0)
	v_cvt_f32_u32_e32 v1, s4
	s_sub_i32 s6, 0, s4
	s_delay_alu instid0(VALU_DEP_1) | instskip(SKIP_4) | instid1(VALU_DEP_2)
	v_rcp_iflag_f32_e32 v4, v1
	v_or_b32_e32 v1, 1, v16
	s_waitcnt_depctr 0xfff
	v_mul_f32_e32 v8, 0x4f7ffffe, v4
	v_or_b32_e32 v4, 4, v16
	v_cvt_u32_f32_e32 v11, v8
	v_or_b32_e32 v8, 8, v16
	s_delay_alu instid0(VALU_DEP_2) | instskip(SKIP_2) | instid1(VALU_DEP_3)
	v_readfirstlane_b32 s5, v11
	v_or_b32_e32 v11, 11, v16
	v_add_nc_u32_e32 v16, 16, v16
	s_mul_i32 s6, s6, s5
	s_delay_alu instid0(SALU_CYCLE_1) | instskip(NEXT) | instid1(SALU_CYCLE_1)
	s_mul_hi_u32 s6, s5, s6
	s_add_i32 s5, s5, s6
	s_delay_alu instid0(SALU_CYCLE_1) | instskip(NEXT) | instid1(SALU_CYCLE_1)
	s_lshr_b32 s5, s5, 20
	s_mul_i32 s6, s5, s4
	s_add_i32 s7, s5, 1
	s_sub_i32 s6, 0x1000, s6
	s_delay_alu instid0(SALU_CYCLE_1)
	s_sub_i32 s9, s6, s4
	s_cmp_ge_u32 s6, s4
	s_cselect_b32 s1, s7, s5
	s_cselect_b32 s5, s9, s6
	s_add_i32 s6, s1, 1
	s_cmp_ge_u32 s5, s4
	s_cselect_b32 s1, s6, s1
	s_max_u32 s4, s4, 1
	s_add_i32 s1, s1, 1
	s_waitcnt vmcnt(15)
	v_lshlrev_b16 v17, 8, v17
	s_waitcnt vmcnt(14)
	v_lshlrev_b16 v18, 8, v18
	;; [unrolled: 2-line block ×8, first 2 shown]
	s_waitcnt vmcnt(7)
	v_or_b32_e32 v17, v25, v17
	s_waitcnt vmcnt(6)
	v_or_b32_e32 v18, v26, v18
	;; [unrolled: 2-line block ×8, first 2 shown]
	v_and_b32_e32 v17, 0xffff, v17
	v_lshlrev_b32_e32 v18, 16, v18
	v_and_b32_e32 v19, 0xffff, v19
	v_lshlrev_b32_e32 v25, 16, v20
	;; [unrolled: 2-line block ×4, first 2 shown]
	v_or_b32_e32 v20, v17, v18
	v_or_b32_e32 v19, v19, v25
	;; [unrolled: 1-line block ×3, first 2 shown]
                                        ; implicit-def: $vgpr32
                                        ; implicit-def: $vgpr31
	s_delay_alu instid0(VALU_DEP_4)
	v_or_b32_e32 v17, v23, v24
                                        ; implicit-def: $vgpr24
	s_branch .LBB226_2
.LBB226_1:                              ;   in Loop: Header=BB226_2 Depth=1
	s_or_b32 exec_lo, exec_lo, s5
	v_lshrrev_b32_e32 v39, 16, v36
	v_lshrrev_b32_e32 v38, 8, v36
	;; [unrolled: 1-line block ×5, first 2 shown]
	v_add_nc_u16 v22, v39, v22
	v_add_nc_u16 v38, v38, v24
	v_lshrrev_b32_e32 v24, 8, v32
	v_add_nc_u16 v39, v32, v19
	v_lshrrev_b32_e32 v19, 8, v40
	v_lshrrev_b32_e32 v31, 16, v43
	v_add_nc_u16 v37, v36, v20
	v_add_nc_u16 v23, v41, v23
	v_lshrrev_b32_e32 v36, 24, v32
	v_add_nc_u16 v21, v24, v21
	v_lshrrev_b32_e32 v20, 24, v40
	v_lshrrev_b32_e32 v32, 8, v43
	v_add_nc_u16 v41, v19, v33
	v_lshrrev_b32_e32 v33, 24, v43
	v_add_nc_u16 v25, v34, v25
	v_add_nc_u16 v26, v36, v26
	;; [unrolled: 1-line block ×7, first 2 shown]
	v_and_b32_e32 v17, 0xff, v37
	v_lshlrev_b16 v18, 8, v38
	v_lshlrev_b16 v19, 8, v23
	v_and_b32_e32 v20, 0xff, v22
	v_and_b32_e32 v44, 0xff, v39
	v_lshlrev_b16 v45, 8, v21
	v_add_nc_u16 v30, v31, v30
	v_add_nc_u16 v35, v33, v35
	v_or_b32_e32 v17, v17, v18
	v_or_b32_e32 v18, v20, v19
	;; [unrolled: 1-line block ×3, first 2 shown]
	v_lshlrev_b16 v20, 8, v26
	v_and_b32_e32 v43, 0xff, v25
	v_and_b32_e32 v44, 0xff, v40
	v_lshlrev_b16 v45, 8, v41
	v_lshlrev_b16 v46, 8, v28
	v_and_b32_e32 v47, 0xff, v27
	v_and_b32_e32 v48, 0xff, v42
	v_lshlrev_b16 v49, 8, v29
	v_lshlrev_b16 v50, 8, v35
	v_and_b32_e32 v51, 0xff, v30
	v_or_b32_e32 v20, v43, v20
	v_or_b32_e32 v43, v44, v45
	;; [unrolled: 1-line block ×5, first 2 shown]
	v_and_b32_e32 v17, 0xffff, v17
	v_lshlrev_b32_e32 v18, 16, v18
	v_and_b32_e32 v19, 0xffff, v19
	v_lshlrev_b32_e32 v47, 16, v20
	;; [unrolled: 2-line block ×4, first 2 shown]
	s_add_i32 s0, s1, s0
	v_or_b32_e32 v20, v17, v18
	v_or_b32_e32 v19, v19, v47
	;; [unrolled: 1-line block ×4, first 2 shown]
	s_add_i32 s4, s4, -1
	s_and_b32 s0, s0, 0xfff
	s_cmp_lg_u32 s4, 0
	s_barrier
	buffer_gl0_inv
	s_cbranch_scc0 .LBB226_4
.LBB226_2:                              ; =>This Inner Loop Header: Depth=1
	s_delay_alu instid0(VALU_DEP_3)
	v_lshrrev_b32_e32 v21, 8, v19
	v_lshlrev_b16 v29, 8, v24
	v_lshrrev_b32_e32 v24, 8, v20
	v_and_b32_e32 v37, 0xff, v17
	v_and_b32_e32 v31, 0xff, v31
	v_sub_nc_u16 v25, v19, v21
	v_lshlrev_b16 v33, 8, v33
	v_lshlrev_b16 v32, 8, v32
	v_and_b32_e32 v26, 0xff, v19
	v_lshlrev_b16 v28, 8, v36
	v_cmp_gt_u32_e32 vcc_lo, s0, v5
	v_and_b32_e32 v27, 0xff, v34
	v_sub_nc_u16 v42, v20, v24
	v_and_b32_e32 v25, 0xff, v25
	v_or_b32_e32 v31, v31, v33
	v_or_b32_e32 v37, v37, v32
	;; [unrolled: 1-line block ×5, first 2 shown]
	v_lshlrev_b32_e32 v31, 16, v31
	v_and_b32_e32 v37, 0xffff, v37
	v_lshlrev_b32_e32 v29, 16, v27
	v_and_b32_e32 v30, 0xffff, v26
	v_lshrrev_b32_e32 v25, 16, v19
	v_lshrrev_b32_e32 v27, 16, v18
	v_or_b32_e32 v37, v37, v31
	v_and_b32_e32 v36, 0xffff, v28
	v_or_b32_e32 v30, v30, v29
	v_sub_nc_u16 v38, v21, v25
	v_and_b32_e32 v35, 0xffffff00, v19
	v_lshrrev_b32_e32 v26, 24, v19
	v_or_b32_e32 v36, v36, v29
	v_lshrrev_b32_e32 v22, 16, v20
	v_lshlrev_b16 v38, 8, v38
	v_lshrrev_b32_e32 v23, 24, v20
	v_sub_nc_u16 v46, v25, v26
	v_cndmask_b32_e32 v36, v30, v36, vcc_lo
	v_cmp_gt_u32_e32 vcc_lo, s0, v6
	v_lshrrev_b32_e32 v29, 8, v17
	v_sub_nc_u16 v41, v22, v23
	v_and_b32_e32 v45, 0xff, v25
	v_and_b32_e32 v39, 0xff, v36
	;; [unrolled: 1-line block ×4, first 2 shown]
	v_lshrrev_b32_e32 v28, 24, v18
	v_sub_nc_u16 v33, v17, v29
	v_or_b32_e32 v38, v39, v38
	v_or_b32_e32 v35, v39, v35
	v_sub_nc_u16 v43, v23, v19
	v_and_b32_e32 v40, 0xffffff00, v22
	v_and_b32_e32 v33, 0xff, v33
	;; [unrolled: 1-line block ×4, first 2 shown]
	v_sub_nc_u16 v39, v24, v22
	v_lshlrev_b16 v43, 8, v43
	v_or_b32_e32 v32, v33, v32
	v_or_b32_e32 v38, v38, v36
	;; [unrolled: 1-line block ×3, first 2 shown]
	v_sub_nc_u16 v36, v27, v28
	v_lshlrev_b16 v39, 8, v39
	v_and_b32_e32 v32, 0xffff, v32
	v_lshrrev_b32_e32 v30, 16, v17
	v_cndmask_b32_e32 v35, v35, v38, vcc_lo
	v_cmp_gt_u32_e32 vcc_lo, s0, v3
	v_and_b32_e32 v34, 0xffffff00, v20
	v_or_b32_e32 v31, v32, v31
	v_sub_nc_u16 v38, v29, v30
	v_lshrrev_b32_e32 v47, 16, v35
	v_cndmask_b32_e32 v41, v22, v41, vcc_lo
	v_cmp_gt_u32_e32 vcc_lo, s0, v1
	v_and_b32_e32 v35, 0xffff, v35
	v_lshlrev_b16 v38, 8, v38
	v_and_b32_e32 v47, 0xffffff00, v47
	v_dual_cndmask_b32 v42, v20, v42 :: v_dual_and_b32 v41, 0xff, v41
	v_cmp_gt_u32_e32 vcc_lo, s0, v11
	v_and_b32_e32 v44, 0xffffff00, v25
	s_delay_alu instid0(VALU_DEP_4)
	v_or_b32_e32 v45, v45, v47
	v_or_b32_e32 v46, v46, v47
	v_and_b32_e32 v42, 0xff, v42
	v_cndmask_b32_e32 v36, v27, v36, vcc_lo
	v_cmp_gt_u32_e32 vcc_lo, s0, v7
	v_lshlrev_b32_e32 v45, 16, v45
	v_lshlrev_b32_e32 v46, 16, v46
	v_or_b32_e32 v40, v41, v40
	v_or_b32_e32 v34, v42, v34
	v_and_b32_e32 v47, 0xff, v30
	v_or_b32_e32 v33, v35, v45
	v_or_b32_e32 v35, v35, v46
	v_sub_nc_u16 v46, v26, v18
	v_and_b32_e32 v34, 0xffff, v34
	v_and_b32_e32 v36, 0xff, v36
	s_mov_b32 s5, exec_lo
	v_cndmask_b32_e32 v45, v33, v35, vcc_lo
	v_or_b32_e32 v35, v41, v43
	v_cmp_gt_u32_e32 vcc_lo, s0, v4
	v_or_b32_e32 v33, v42, v39
	v_and_b32_e32 v43, 0xffffff00, v18
	v_lshrrev_b32_e32 v39, 16, v45
	v_and_b32_e32 v41, 0xffffff00, v27
	v_cndmask_b32_e32 v32, v40, v35, vcc_lo
	v_cmp_gt_u32_e32 vcc_lo, s0, v13
	v_and_b32_e32 v33, 0xffff, v33
	v_and_b32_e32 v35, 0xffffff00, v17
	;; [unrolled: 1-line block ×3, first 2 shown]
	v_lshlrev_b16 v46, 8, v46
	v_cndmask_b32_e32 v31, v37, v31, vcc_lo
	v_cmp_gt_u32_e32 vcc_lo, s0, v2
	v_or_b32_e32 v41, v36, v41
	v_or_b32_e32 v37, v39, v44
	;; [unrolled: 1-line block ×3, first 2 shown]
	v_and_b32_e32 v40, 0xff, v31
	v_cndmask_b32_e32 v34, v34, v33, vcc_lo
	v_lshrrev_b32_e32 v33, 8, v18
	v_cmp_gt_u32_e32 vcc_lo, s0, v9
	v_and_b32_e32 v31, 0xffff0000, v31
	v_or_b32_e32 v35, v40, v35
	v_or_b32_e32 v38, v40, v38
	v_sub_nc_u16 v42, v18, v33
	v_lshlrev_b32_e32 v37, 16, v37
	v_lshlrev_b32_e32 v39, 16, v39
	v_and_b32_e32 v35, 0xffff, v35
	v_and_b32_e32 v38, 0xffff, v38
	v_cndmask_b32_e32 v40, v18, v42, vcc_lo
	v_sub_nc_u16 v42, v33, v27
	v_cmp_gt_u32_e32 vcc_lo, s0, v14
	v_lshl_or_b32 v34, v32, 16, v34
	v_or_b32_e32 v38, v38, v31
	v_and_b32_e32 v40, 0xff, v40
	v_or_b32_e32 v31, v35, v31
	v_lshlrev_b16 v42, 8, v42
	v_lshrrev_b32_e32 v35, 24, v17
	ds_store_b8 v0, v20 offset:256
	v_or_b32_e32 v43, v40, v43
	v_cndmask_b32_e32 v31, v31, v38, vcc_lo
	v_or_b32_e32 v40, v40, v42
	v_sub_nc_u16 v44, v30, v35
	v_sub_nc_u16 v42, v28, v17
	v_and_b32_e32 v38, 0xffff, v43
	v_lshrrev_b32_e32 v43, 16, v31
	v_and_b32_e32 v40, 0xffff, v40
	v_and_b32_e32 v44, 0xff, v44
	v_cmp_gt_u32_e32 vcc_lo, s0, v10
	v_lshlrev_b16 v42, 8, v42
	v_and_b32_e32 v43, 0xffffff00, v43
	v_and_b32_e32 v31, 0xffff, v31
	s_waitcnt lgkmcnt(0)
	v_cndmask_b32_e32 v38, v38, v40, vcc_lo
	v_or_b32_e32 v36, v36, v42
	v_or_b32_e32 v40, v47, v43
	;; [unrolled: 1-line block ×3, first 2 shown]
	v_cmp_gt_u32_e32 vcc_lo, s0, v12
	s_barrier
	buffer_gl0_inv
	v_lshlrev_b32_e32 v40, 16, v40
	v_lshlrev_b32_e32 v42, 16, v43
	v_dual_cndmask_b32 v36, v41, v36 :: v_dual_and_b32 v43, 0xffff, v45
	v_cmp_gt_u32_e32 vcc_lo, s0, v15
	s_delay_alu instid0(VALU_DEP_4) | instskip(NEXT) | instid1(VALU_DEP_4)
	v_or_b32_e32 v40, v31, v40
	v_or_b32_e32 v31, v31, v42
	s_delay_alu instid0(VALU_DEP_4) | instskip(SKIP_1) | instid1(VALU_DEP_3)
	v_or_b32_e32 v37, v43, v37
	v_or_b32_e32 v39, v43, v39
	v_cndmask_b32_e32 v40, v40, v31, vcc_lo
	v_lshl_or_b32 v31, v36, 16, v38
	v_cmp_gt_u32_e32 vcc_lo, s0, v8
	v_perm_b32 v36, v34, v34, 0x3020104
	s_delay_alu instid0(VALU_DEP_4) | instskip(NEXT) | instid1(VALU_DEP_4)
	v_perm_b32 v43, v40, v17, 0x3060504
	v_perm_b32 v40, v31, v31, 0x3020104
	v_cndmask_b32_e32 v32, v37, v39, vcc_lo
	v_cmpx_gt_u32_e64 s0, v16
	s_cbranch_execz .LBB226_1
; %bb.3:                                ;   in Loop: Header=BB226_2 Depth=1
	ds_load_u8 v36, v0 offset:257
	v_lshrrev_b32_e32 v38, 16, v43
	v_lshrrev_b32_e32 v37, 8, v43
	v_dual_mov_b32 v40, v31 :: v_dual_and_b32 v39, 0xff, v43
	s_delay_alu instid0(VALU_DEP_3) | instskip(NEXT) | instid1(VALU_DEP_3)
	v_and_b32_e32 v38, 0xff, v38
	v_lshlrev_b16 v37, 8, v37
	s_waitcnt lgkmcnt(0)
	v_sub_nc_u16 v36, v35, v36
	s_delay_alu instid0(VALU_DEP_1) | instskip(NEXT) | instid1(VALU_DEP_1)
	v_lshlrev_b16 v36, 8, v36
	v_or_b32_e32 v36, v38, v36
	s_delay_alu instid0(VALU_DEP_1) | instskip(SKIP_2) | instid1(VALU_DEP_1)
	v_lshlrev_b32_e32 v38, 16, v36
	v_mov_b32_e32 v36, v34
	v_or_b32_e32 v37, v39, v37
	v_and_b32_e32 v37, 0xffff, v37
	s_delay_alu instid0(VALU_DEP_1)
	v_or_b32_e32 v43, v37, v38
	s_branch .LBB226_1
.LBB226_4:
	s_add_u32 s0, s2, s8
	s_addc_u32 s1, s3, 0
	v_add_co_u32 v0, s0, s0, v0
	s_delay_alu instid0(VALU_DEP_1)
	v_add_co_ci_u32_e64 v1, null, s1, 0, s0
	s_clause 0xf
	global_store_b8 v[0:1], v37, off
	global_store_b8 v[0:1], v38, off offset:256
	global_store_b8 v[0:1], v22, off offset:512
	;; [unrolled: 1-line block ×15, first 2 shown]
	s_nop 0
	s_sendmsg sendmsg(MSG_DEALLOC_VGPRS)
	s_endpgm
	.section	.rodata,"a",@progbits
	.p2align	6, 0x0
	.amdhsa_kernel _Z6kernelI27subtract_right_partial_tileLj256ELj16ELb1EJPaPiS1_jEEvDpT3_
		.amdhsa_group_segment_fixed_size 512
		.amdhsa_private_segment_fixed_size 0
		.amdhsa_kernarg_size 28
		.amdhsa_user_sgpr_count 15
		.amdhsa_user_sgpr_dispatch_ptr 0
		.amdhsa_user_sgpr_queue_ptr 0
		.amdhsa_user_sgpr_kernarg_segment_ptr 1
		.amdhsa_user_sgpr_dispatch_id 0
		.amdhsa_user_sgpr_private_segment_size 0
		.amdhsa_wavefront_size32 1
		.amdhsa_uses_dynamic_stack 0
		.amdhsa_enable_private_segment 0
		.amdhsa_system_sgpr_workgroup_id_x 1
		.amdhsa_system_sgpr_workgroup_id_y 0
		.amdhsa_system_sgpr_workgroup_id_z 0
		.amdhsa_system_sgpr_workgroup_info 0
		.amdhsa_system_vgpr_workitem_id 0
		.amdhsa_next_free_vgpr 52
		.amdhsa_next_free_sgpr 16
		.amdhsa_reserve_vcc 1
		.amdhsa_float_round_mode_32 0
		.amdhsa_float_round_mode_16_64 0
		.amdhsa_float_denorm_mode_32 3
		.amdhsa_float_denorm_mode_16_64 3
		.amdhsa_dx10_clamp 1
		.amdhsa_ieee_mode 1
		.amdhsa_fp16_overflow 0
		.amdhsa_workgroup_processor_mode 1
		.amdhsa_memory_ordered 1
		.amdhsa_forward_progress 0
		.amdhsa_shared_vgpr_count 0
		.amdhsa_exception_fp_ieee_invalid_op 0
		.amdhsa_exception_fp_denorm_src 0
		.amdhsa_exception_fp_ieee_div_zero 0
		.amdhsa_exception_fp_ieee_overflow 0
		.amdhsa_exception_fp_ieee_underflow 0
		.amdhsa_exception_fp_ieee_inexact 0
		.amdhsa_exception_int_div_zero 0
	.end_amdhsa_kernel
	.section	.text._Z6kernelI27subtract_right_partial_tileLj256ELj16ELb1EJPaPiS1_jEEvDpT3_,"axG",@progbits,_Z6kernelI27subtract_right_partial_tileLj256ELj16ELb1EJPaPiS1_jEEvDpT3_,comdat
.Lfunc_end226:
	.size	_Z6kernelI27subtract_right_partial_tileLj256ELj16ELb1EJPaPiS1_jEEvDpT3_, .Lfunc_end226-_Z6kernelI27subtract_right_partial_tileLj256ELj16ELb1EJPaPiS1_jEEvDpT3_
                                        ; -- End function
	.section	.AMDGPU.csdata,"",@progbits
; Kernel info:
; codeLenInByte = 2388
; NumSgprs: 18
; NumVgprs: 52
; ScratchSize: 0
; MemoryBound: 0
; FloatMode: 240
; IeeeMode: 1
; LDSByteSize: 512 bytes/workgroup (compile time only)
; SGPRBlocks: 2
; VGPRBlocks: 6
; NumSGPRsForWavesPerEU: 18
; NumVGPRsForWavesPerEU: 52
; Occupancy: 16
; WaveLimiterHint : 1
; COMPUTE_PGM_RSRC2:SCRATCH_EN: 0
; COMPUTE_PGM_RSRC2:USER_SGPR: 15
; COMPUTE_PGM_RSRC2:TRAP_HANDLER: 0
; COMPUTE_PGM_RSRC2:TGID_X_EN: 1
; COMPUTE_PGM_RSRC2:TGID_Y_EN: 0
; COMPUTE_PGM_RSRC2:TGID_Z_EN: 0
; COMPUTE_PGM_RSRC2:TIDIG_COMP_CNT: 0
	.section	.text._Z6kernelI27subtract_right_partial_tileLj256ELj32ELb1EJPaPiS1_jEEvDpT3_,"axG",@progbits,_Z6kernelI27subtract_right_partial_tileLj256ELj32ELb1EJPaPiS1_jEEvDpT3_,comdat
	.protected	_Z6kernelI27subtract_right_partial_tileLj256ELj32ELb1EJPaPiS1_jEEvDpT3_ ; -- Begin function _Z6kernelI27subtract_right_partial_tileLj256ELj32ELb1EJPaPiS1_jEEvDpT3_
	.globl	_Z6kernelI27subtract_right_partial_tileLj256ELj32ELb1EJPaPiS1_jEEvDpT3_
	.p2align	8
	.type	_Z6kernelI27subtract_right_partial_tileLj256ELj32ELb1EJPaPiS1_jEEvDpT3_,@function
_Z6kernelI27subtract_right_partial_tileLj256ELj32ELb1EJPaPiS1_jEEvDpT3_: ; @_Z6kernelI27subtract_right_partial_tileLj256ELj32ELb1EJPaPiS1_jEEvDpT3_
; %bb.0:
	s_clause 0x1
	s_load_b128 s[4:7], s[0:1], 0x0
	s_load_b64 s[2:3], s[0:1], 0x10
	s_lshl_b32 s8, s15, 13
	s_mov_b32 s10, s15
	s_mov_b32 s11, 0
	v_lshlrev_b32_e32 v64, 5, v0
	s_delay_alu instid0(VALU_DEP_1)
	v_or_b32_e32 v35, 3, v64
	v_or_b32_e32 v36, 4, v64
	;; [unrolled: 1-line block ×10, first 2 shown]
	s_waitcnt lgkmcnt(0)
	s_add_u32 s4, s4, s8
	s_addc_u32 s5, s5, 0
	v_add_co_u32 v1, s9, s4, v0
	s_delay_alu instid0(VALU_DEP_1)
	v_add_co_ci_u32_e64 v2, null, s5, 0, s9
	s_clause 0x7
	global_load_u8 v32, v0, s[4:5]
	global_load_u8 v31, v0, s[4:5] offset:256
	global_load_u8 v30, v0, s[4:5] offset:512
	;; [unrolled: 1-line block ×7, first 2 shown]
	v_add_co_u32 v33, vcc_lo, 0x1000, v1
	v_add_co_ci_u32_e32 v34, vcc_lo, 0, v2, vcc_lo
	s_clause 0x17
	global_load_u8 v24, v0, s[4:5] offset:2048
	global_load_u8 v23, v0, s[4:5] offset:2304
	;; [unrolled: 1-line block ×8, first 2 shown]
	global_load_u8 v16, v[33:34], off
	global_load_u8 v15, v[33:34], off offset:256
	global_load_u8 v14, v[33:34], off offset:512
	;; [unrolled: 1-line block ×15, first 2 shown]
	s_load_b32 s4, s[0:1], 0x18
	s_lshl_b64 s[0:1], s[10:11], 2
	v_or_b32_e32 v34, 2, v64
	s_add_u32 s0, s6, s0
	s_addc_u32 s1, s7, s1
	v_or_b32_e32 v45, 13, v64
	s_load_b32 s0, s[0:1], 0x0
	v_or_b32_e32 v46, 14, v64
	v_or_b32_e32 v47, 15, v64
	;; [unrolled: 1-line block ×13, first 2 shown]
	s_waitcnt lgkmcnt(0)
	v_cvt_f32_u32_e32 v33, s4
	s_sub_i32 s6, 0, s4
	v_or_b32_e32 v59, 27, v64
	v_or_b32_e32 v60, 28, v64
	;; [unrolled: 1-line block ×3, first 2 shown]
	v_rcp_iflag_f32_e32 v33, v33
	v_or_b32_e32 v62, 30, v64
	v_or_b32_e32 v63, 31, v64
	s_waitcnt_depctr 0xfff
	v_mul_f32_e32 v33, 0x4f7ffffe, v33
	s_delay_alu instid0(VALU_DEP_1) | instskip(NEXT) | instid1(VALU_DEP_1)
	v_cvt_u32_f32_e32 v33, v33
	v_readfirstlane_b32 s5, v33
	v_or_b32_e32 v33, 1, v64
	v_add_nc_u32_e32 v64, 32, v64
	s_delay_alu instid0(VALU_DEP_3) | instskip(NEXT) | instid1(SALU_CYCLE_1)
	s_mul_i32 s6, s6, s5
	s_mul_hi_u32 s6, s5, s6
	s_delay_alu instid0(SALU_CYCLE_1) | instskip(NEXT) | instid1(SALU_CYCLE_1)
	s_add_i32 s5, s5, s6
	s_lshr_b32 s5, s5, 19
	s_delay_alu instid0(SALU_CYCLE_1) | instskip(SKIP_2) | instid1(SALU_CYCLE_1)
	s_mul_i32 s6, s5, s4
	s_add_i32 s7, s5, 1
	s_sub_i32 s6, 0x2000, s6
	s_sub_i32 s9, s6, s4
	s_cmp_ge_u32 s6, s4
	s_cselect_b32 s5, s7, s5
	s_cselect_b32 s6, s9, s6
	s_add_i32 s7, s5, 1
	s_cmp_ge_u32 s6, s4
	s_cselect_b32 s1, s7, s5
	s_max_u32 s4, s4, 1
	s_add_i32 s1, s1, 1
	s_branch .LBB227_2
.LBB227_1:                              ;   in Loop: Header=BB227_2 Depth=1
	s_or_b32 exec_lo, exec_lo, s5
	v_cmp_gt_u32_e32 vcc_lo, s0, v33
	s_add_i32 s4, s4, -1
	s_barrier
	buffer_gl0_inv
	v_cndmask_b32_e32 v66, 0, v31, vcc_lo
	v_cmp_gt_u32_e32 vcc_lo, s0, v34
	v_cndmask_b32_e32 v67, 0, v30, vcc_lo
	v_cmp_gt_u32_e32 vcc_lo, s0, v35
	s_delay_alu instid0(VALU_DEP_4) | instskip(NEXT) | instid1(VALU_DEP_3)
	v_sub_nc_u16 v66, v32, v66
	v_sub_nc_u16 v67, v31, v67
	v_cndmask_b32_e32 v68, 0, v29, vcc_lo
	v_cmp_gt_u32_e32 vcc_lo, s0, v36
	s_delay_alu instid0(VALU_DEP_4) | instskip(NEXT) | instid1(VALU_DEP_4)
	v_add_nc_u16 v32, v66, v32
	v_add_nc_u16 v31, v67, v31
	v_cndmask_b32_e32 v69, 0, v28, vcc_lo
	v_cmp_gt_u32_e32 vcc_lo, s0, v37
	v_sub_nc_u16 v68, v30, v68
	s_delay_alu instid0(VALU_DEP_3) | instskip(SKIP_2) | instid1(VALU_DEP_4)
	v_sub_nc_u16 v69, v29, v69
	v_cndmask_b32_e32 v70, 0, v27, vcc_lo
	v_cmp_gt_u32_e32 vcc_lo, s0, v38
	v_add_nc_u16 v30, v68, v30
	s_delay_alu instid0(VALU_DEP_4) | instskip(SKIP_3) | instid1(VALU_DEP_3)
	v_add_nc_u16 v29, v69, v29
	v_cndmask_b32_e32 v71, 0, v26, vcc_lo
	v_cmp_gt_u32_e32 vcc_lo, s0, v39
	v_sub_nc_u16 v70, v28, v70
	v_sub_nc_u16 v71, v27, v71
	v_cndmask_b32_e32 v72, 0, v25, vcc_lo
	v_cmp_gt_u32_e32 vcc_lo, s0, v40
	s_delay_alu instid0(VALU_DEP_4) | instskip(NEXT) | instid1(VALU_DEP_4)
	v_add_nc_u16 v28, v70, v28
	v_add_nc_u16 v27, v71, v27
	v_cndmask_b32_e32 v73, 0, v24, vcc_lo
	v_cmp_gt_u32_e32 vcc_lo, s0, v41
	v_sub_nc_u16 v72, v26, v72
	s_delay_alu instid0(VALU_DEP_3) | instskip(SKIP_2) | instid1(VALU_DEP_4)
	v_sub_nc_u16 v73, v25, v73
	v_cndmask_b32_e32 v74, 0, v23, vcc_lo
	v_cmp_gt_u32_e32 vcc_lo, s0, v42
	v_add_nc_u16 v26, v72, v26
	s_delay_alu instid0(VALU_DEP_4) | instskip(SKIP_3) | instid1(VALU_DEP_3)
	v_add_nc_u16 v25, v73, v25
	v_cndmask_b32_e32 v75, 0, v22, vcc_lo
	v_cmp_gt_u32_e32 vcc_lo, s0, v43
	;; [unrolled: 19-line block ×6, first 2 shown]
	v_sub_nc_u16 v90, v8, v90
	v_sub_nc_u16 v91, v7, v91
	v_cndmask_b32_e32 v92, 0, v5, vcc_lo
	v_cmp_gt_u32_e32 vcc_lo, s0, v60
	s_delay_alu instid0(VALU_DEP_4) | instskip(NEXT) | instid1(VALU_DEP_4)
	v_add_nc_u16 v8, v90, v8
	v_add_nc_u16 v7, v91, v7
	v_cndmask_b32_e32 v93, 0, v4, vcc_lo
	v_cmp_gt_u32_e32 vcc_lo, s0, v61
	v_sub_nc_u16 v92, v6, v92
	s_delay_alu instid0(VALU_DEP_3) | instskip(SKIP_2) | instid1(VALU_DEP_4)
	v_sub_nc_u16 v93, v5, v93
	v_cndmask_b32_e32 v66, 0, v3, vcc_lo
	v_cmp_gt_u32_e32 vcc_lo, s0, v62
	v_add_nc_u16 v6, v92, v6
	s_delay_alu instid0(VALU_DEP_4) | instskip(SKIP_4) | instid1(VALU_DEP_3)
	v_add_nc_u16 v5, v93, v5
	v_cndmask_b32_e32 v67, 0, v2, vcc_lo
	v_cmp_gt_u32_e32 vcc_lo, s0, v63
	v_sub_nc_u16 v66, v4, v66
	s_add_i32 s0, s1, s0
	v_sub_nc_u16 v67, v3, v67
	v_cndmask_b32_e32 v68, 0, v1, vcc_lo
	s_delay_alu instid0(VALU_DEP_3)
	v_add_nc_u16 v4, v66, v4
	v_add_nc_u16 v1, v65, v1
	s_and_b32 s0, s0, 0x1fff
	v_add_nc_u16 v3, v67, v3
	v_sub_nc_u16 v68, v2, v68
	s_cmp_lg_u32 s4, 0
	s_delay_alu instid0(VALU_DEP_1)
	v_add_nc_u16 v2, v68, v2
	s_cbranch_scc0 .LBB227_4
.LBB227_2:                              ; =>This Inner Loop Header: Depth=1
	s_waitcnt vmcnt(0)
	v_mov_b32_e32 v65, v1
	s_mov_b32 s5, exec_lo
	ds_store_b8 v0, v32 offset:256
	s_waitcnt lgkmcnt(0)
	s_barrier
	buffer_gl0_inv
	v_cmpx_gt_u32_e64 s0, v64
	s_cbranch_execz .LBB227_1
; %bb.3:                                ;   in Loop: Header=BB227_2 Depth=1
	ds_load_u8 v65, v0 offset:257
	s_waitcnt lgkmcnt(0)
	v_sub_nc_u16 v65, v1, v65
	s_branch .LBB227_1
.LBB227_4:
	s_add_u32 s0, s2, s8
	s_addc_u32 s1, s3, 0
	v_add_co_u32 v33, s0, s0, v0
	s_delay_alu instid0(VALU_DEP_1)
	v_add_co_ci_u32_e64 v34, null, s1, 0, s0
	s_clause 0x7
	global_store_b8 v[33:34], v32, off
	global_store_b8 v[33:34], v31, off offset:256
	global_store_b8 v[33:34], v30, off offset:512
	;; [unrolled: 1-line block ×7, first 2 shown]
	v_add_co_u32 v25, vcc_lo, 0x1000, v33
	v_add_co_ci_u32_e32 v26, vcc_lo, 0, v34, vcc_lo
	s_clause 0x17
	global_store_b8 v[33:34], v24, off offset:2048
	global_store_b8 v[33:34], v23, off offset:2304
	;; [unrolled: 1-line block ×8, first 2 shown]
	global_store_b8 v[25:26], v16, off
	global_store_b8 v[25:26], v15, off offset:256
	global_store_b8 v[25:26], v14, off offset:512
	;; [unrolled: 1-line block ×15, first 2 shown]
	s_nop 0
	s_sendmsg sendmsg(MSG_DEALLOC_VGPRS)
	s_endpgm
	.section	.rodata,"a",@progbits
	.p2align	6, 0x0
	.amdhsa_kernel _Z6kernelI27subtract_right_partial_tileLj256ELj32ELb1EJPaPiS1_jEEvDpT3_
		.amdhsa_group_segment_fixed_size 512
		.amdhsa_private_segment_fixed_size 0
		.amdhsa_kernarg_size 28
		.amdhsa_user_sgpr_count 15
		.amdhsa_user_sgpr_dispatch_ptr 0
		.amdhsa_user_sgpr_queue_ptr 0
		.amdhsa_user_sgpr_kernarg_segment_ptr 1
		.amdhsa_user_sgpr_dispatch_id 0
		.amdhsa_user_sgpr_private_segment_size 0
		.amdhsa_wavefront_size32 1
		.amdhsa_uses_dynamic_stack 0
		.amdhsa_enable_private_segment 0
		.amdhsa_system_sgpr_workgroup_id_x 1
		.amdhsa_system_sgpr_workgroup_id_y 0
		.amdhsa_system_sgpr_workgroup_id_z 0
		.amdhsa_system_sgpr_workgroup_info 0
		.amdhsa_system_vgpr_workitem_id 0
		.amdhsa_next_free_vgpr 94
		.amdhsa_next_free_sgpr 16
		.amdhsa_reserve_vcc 1
		.amdhsa_float_round_mode_32 0
		.amdhsa_float_round_mode_16_64 0
		.amdhsa_float_denorm_mode_32 3
		.amdhsa_float_denorm_mode_16_64 3
		.amdhsa_dx10_clamp 1
		.amdhsa_ieee_mode 1
		.amdhsa_fp16_overflow 0
		.amdhsa_workgroup_processor_mode 1
		.amdhsa_memory_ordered 1
		.amdhsa_forward_progress 0
		.amdhsa_shared_vgpr_count 0
		.amdhsa_exception_fp_ieee_invalid_op 0
		.amdhsa_exception_fp_denorm_src 0
		.amdhsa_exception_fp_ieee_div_zero 0
		.amdhsa_exception_fp_ieee_overflow 0
		.amdhsa_exception_fp_ieee_underflow 0
		.amdhsa_exception_fp_ieee_inexact 0
		.amdhsa_exception_int_div_zero 0
	.end_amdhsa_kernel
	.section	.text._Z6kernelI27subtract_right_partial_tileLj256ELj32ELb1EJPaPiS1_jEEvDpT3_,"axG",@progbits,_Z6kernelI27subtract_right_partial_tileLj256ELj32ELb1EJPaPiS1_jEEvDpT3_,comdat
.Lfunc_end227:
	.size	_Z6kernelI27subtract_right_partial_tileLj256ELj32ELb1EJPaPiS1_jEEvDpT3_, .Lfunc_end227-_Z6kernelI27subtract_right_partial_tileLj256ELj32ELb1EJPaPiS1_jEEvDpT3_
                                        ; -- End function
	.section	.AMDGPU.csdata,"",@progbits
; Kernel info:
; codeLenInByte = 1912
; NumSgprs: 18
; NumVgprs: 94
; ScratchSize: 0
; MemoryBound: 0
; FloatMode: 240
; IeeeMode: 1
; LDSByteSize: 512 bytes/workgroup (compile time only)
; SGPRBlocks: 2
; VGPRBlocks: 11
; NumSGPRsForWavesPerEU: 18
; NumVGPRsForWavesPerEU: 94
; Occupancy: 16
; WaveLimiterHint : 1
; COMPUTE_PGM_RSRC2:SCRATCH_EN: 0
; COMPUTE_PGM_RSRC2:USER_SGPR: 15
; COMPUTE_PGM_RSRC2:TRAP_HANDLER: 0
; COMPUTE_PGM_RSRC2:TGID_X_EN: 1
; COMPUTE_PGM_RSRC2:TGID_Y_EN: 0
; COMPUTE_PGM_RSRC2:TGID_Z_EN: 0
; COMPUTE_PGM_RSRC2:TIDIG_COMP_CNT: 0
	.section	.text._Z6kernelI27subtract_right_partial_tileLj256ELj1ELb1EJPxPiS1_jEEvDpT3_,"axG",@progbits,_Z6kernelI27subtract_right_partial_tileLj256ELj1ELb1EJPxPiS1_jEEvDpT3_,comdat
	.protected	_Z6kernelI27subtract_right_partial_tileLj256ELj1ELb1EJPxPiS1_jEEvDpT3_ ; -- Begin function _Z6kernelI27subtract_right_partial_tileLj256ELj1ELb1EJPxPiS1_jEEvDpT3_
	.globl	_Z6kernelI27subtract_right_partial_tileLj256ELj1ELb1EJPxPiS1_jEEvDpT3_
	.p2align	8
	.type	_Z6kernelI27subtract_right_partial_tileLj256ELj1ELb1EJPxPiS1_jEEvDpT3_,@function
_Z6kernelI27subtract_right_partial_tileLj256ELj1ELb1EJPxPiS1_jEEvDpT3_: ; @_Z6kernelI27subtract_right_partial_tileLj256ELj1ELb1EJPxPiS1_jEEvDpT3_
; %bb.0:
	s_clause 0x1
	s_load_b128 s[8:11], s[0:1], 0x0
	s_load_b64 s[4:5], s[0:1], 0x10
	s_lshl_b32 s12, s15, 8
	s_mov_b32 s13, 0
	v_lshlrev_b32_e32 v5, 3, v0
	s_lshl_b64 s[2:3], s[12:13], 3
	s_mov_b32 s6, s15
	s_mov_b32 s7, s13
	v_add_nc_u32_e32 v6, 1, v0
	v_or_b32_e32 v7, 0x800, v5
	s_waitcnt lgkmcnt(0)
	s_add_u32 s8, s8, s2
	s_addc_u32 s9, s9, s3
	global_load_b64 v[1:2], v5, s[8:9]
	s_load_b32 s8, s[0:1], 0x18
	s_lshl_b64 s[0:1], s[6:7], 2
	s_delay_alu instid0(SALU_CYCLE_1)
	s_add_u32 s0, s10, s0
	s_addc_u32 s1, s11, s1
	s_load_b32 s0, s[0:1], 0x0
	s_waitcnt lgkmcnt(0)
	v_cvt_f32_u32_e32 v3, s8
	s_sub_i32 s7, 0, s8
	s_delay_alu instid0(VALU_DEP_1) | instskip(SKIP_2) | instid1(VALU_DEP_1)
	v_rcp_iflag_f32_e32 v3, v3
	s_waitcnt_depctr 0xfff
	v_mul_f32_e32 v3, 0x4f7ffffe, v3
	v_cvt_u32_f32_e32 v3, v3
	s_delay_alu instid0(VALU_DEP_1) | instskip(NEXT) | instid1(VALU_DEP_1)
	v_readfirstlane_b32 s6, v3
	s_mul_i32 s7, s7, s6
	s_delay_alu instid0(SALU_CYCLE_1) | instskip(NEXT) | instid1(SALU_CYCLE_1)
	s_mul_hi_u32 s7, s6, s7
	s_add_i32 s6, s6, s7
	s_delay_alu instid0(SALU_CYCLE_1) | instskip(NEXT) | instid1(SALU_CYCLE_1)
	s_lshr_b32 s6, s6, 24
	s_mul_i32 s1, s6, s8
	s_add_i32 s7, s6, 1
	s_sub_i32 s1, 0x100, s1
	s_delay_alu instid0(SALU_CYCLE_1)
	s_sub_i32 s9, s1, s8
	s_cmp_ge_u32 s1, s8
	s_cselect_b32 s6, s7, s6
	s_cselect_b32 s1, s9, s1
	s_add_i32 s7, s6, 1
	s_cmp_ge_u32 s1, s8
	s_cselect_b32 s1, s7, s6
	s_max_u32 s6, s8, 1
	s_add_i32 s1, s1, 1
	s_set_inst_prefetch_distance 0x1
	s_branch .LBB228_2
	.p2align	6
.LBB228_1:                              ;   in Loop: Header=BB228_2 Depth=1
	s_or_b32 exec_lo, exec_lo, s7
	s_delay_alu instid0(VALU_DEP_2)
	v_add_co_u32 v1, vcc_lo, v3, v1
	s_add_i32 s0, s1, s0
	v_add_co_ci_u32_e32 v2, vcc_lo, v4, v2, vcc_lo
	s_add_i32 s6, s6, -1
	s_and_b32 s0, s0, 0xff
	s_cmp_lg_u32 s6, 0
	s_barrier
	buffer_gl0_inv
	s_cbranch_scc0 .LBB228_4
.LBB228_2:                              ; =>This Inner Loop Header: Depth=1
	s_waitcnt vmcnt(0)
	v_dual_mov_b32 v4, v2 :: v_dual_mov_b32 v3, v1
	s_mov_b32 s7, exec_lo
	ds_store_b64 v5, v[1:2] offset:2048
	s_waitcnt lgkmcnt(0)
	s_barrier
	buffer_gl0_inv
	v_cmpx_gt_u32_e64 s0, v6
	s_cbranch_execz .LBB228_1
; %bb.3:                                ;   in Loop: Header=BB228_2 Depth=1
	ds_load_b64 v[3:4], v7 offset:8
	s_waitcnt lgkmcnt(0)
	v_sub_co_u32 v3, vcc_lo, v1, v3
	v_sub_co_ci_u32_e32 v4, vcc_lo, v2, v4, vcc_lo
	s_branch .LBB228_1
.LBB228_4:
	s_set_inst_prefetch_distance 0x2
	v_lshlrev_b32_e32 v0, 3, v0
	s_add_u32 s0, s4, s2
	s_addc_u32 s1, s5, s3
	global_store_b64 v0, v[1:2], s[0:1]
	s_nop 0
	s_sendmsg sendmsg(MSG_DEALLOC_VGPRS)
	s_endpgm
	.section	.rodata,"a",@progbits
	.p2align	6, 0x0
	.amdhsa_kernel _Z6kernelI27subtract_right_partial_tileLj256ELj1ELb1EJPxPiS1_jEEvDpT3_
		.amdhsa_group_segment_fixed_size 4096
		.amdhsa_private_segment_fixed_size 0
		.amdhsa_kernarg_size 28
		.amdhsa_user_sgpr_count 15
		.amdhsa_user_sgpr_dispatch_ptr 0
		.amdhsa_user_sgpr_queue_ptr 0
		.amdhsa_user_sgpr_kernarg_segment_ptr 1
		.amdhsa_user_sgpr_dispatch_id 0
		.amdhsa_user_sgpr_private_segment_size 0
		.amdhsa_wavefront_size32 1
		.amdhsa_uses_dynamic_stack 0
		.amdhsa_enable_private_segment 0
		.amdhsa_system_sgpr_workgroup_id_x 1
		.amdhsa_system_sgpr_workgroup_id_y 0
		.amdhsa_system_sgpr_workgroup_id_z 0
		.amdhsa_system_sgpr_workgroup_info 0
		.amdhsa_system_vgpr_workitem_id 0
		.amdhsa_next_free_vgpr 8
		.amdhsa_next_free_sgpr 16
		.amdhsa_reserve_vcc 1
		.amdhsa_float_round_mode_32 0
		.amdhsa_float_round_mode_16_64 0
		.amdhsa_float_denorm_mode_32 3
		.amdhsa_float_denorm_mode_16_64 3
		.amdhsa_dx10_clamp 1
		.amdhsa_ieee_mode 1
		.amdhsa_fp16_overflow 0
		.amdhsa_workgroup_processor_mode 1
		.amdhsa_memory_ordered 1
		.amdhsa_forward_progress 0
		.amdhsa_shared_vgpr_count 0
		.amdhsa_exception_fp_ieee_invalid_op 0
		.amdhsa_exception_fp_denorm_src 0
		.amdhsa_exception_fp_ieee_div_zero 0
		.amdhsa_exception_fp_ieee_overflow 0
		.amdhsa_exception_fp_ieee_underflow 0
		.amdhsa_exception_fp_ieee_inexact 0
		.amdhsa_exception_int_div_zero 0
	.end_amdhsa_kernel
	.section	.text._Z6kernelI27subtract_right_partial_tileLj256ELj1ELb1EJPxPiS1_jEEvDpT3_,"axG",@progbits,_Z6kernelI27subtract_right_partial_tileLj256ELj1ELb1EJPxPiS1_jEEvDpT3_,comdat
.Lfunc_end228:
	.size	_Z6kernelI27subtract_right_partial_tileLj256ELj1ELb1EJPxPiS1_jEEvDpT3_, .Lfunc_end228-_Z6kernelI27subtract_right_partial_tileLj256ELj1ELb1EJPxPiS1_jEEvDpT3_
                                        ; -- End function
	.section	.AMDGPU.csdata,"",@progbits
; Kernel info:
; codeLenInByte = 412
; NumSgprs: 18
; NumVgprs: 8
; ScratchSize: 0
; MemoryBound: 0
; FloatMode: 240
; IeeeMode: 1
; LDSByteSize: 4096 bytes/workgroup (compile time only)
; SGPRBlocks: 2
; VGPRBlocks: 0
; NumSGPRsForWavesPerEU: 18
; NumVGPRsForWavesPerEU: 8
; Occupancy: 16
; WaveLimiterHint : 0
; COMPUTE_PGM_RSRC2:SCRATCH_EN: 0
; COMPUTE_PGM_RSRC2:USER_SGPR: 15
; COMPUTE_PGM_RSRC2:TRAP_HANDLER: 0
; COMPUTE_PGM_RSRC2:TGID_X_EN: 1
; COMPUTE_PGM_RSRC2:TGID_Y_EN: 0
; COMPUTE_PGM_RSRC2:TGID_Z_EN: 0
; COMPUTE_PGM_RSRC2:TIDIG_COMP_CNT: 0
	.section	.text._Z6kernelI27subtract_right_partial_tileLj256ELj3ELb1EJPxPiS1_jEEvDpT3_,"axG",@progbits,_Z6kernelI27subtract_right_partial_tileLj256ELj3ELb1EJPxPiS1_jEEvDpT3_,comdat
	.protected	_Z6kernelI27subtract_right_partial_tileLj256ELj3ELb1EJPxPiS1_jEEvDpT3_ ; -- Begin function _Z6kernelI27subtract_right_partial_tileLj256ELj3ELb1EJPxPiS1_jEEvDpT3_
	.globl	_Z6kernelI27subtract_right_partial_tileLj256ELj3ELb1EJPxPiS1_jEEvDpT3_
	.p2align	8
	.type	_Z6kernelI27subtract_right_partial_tileLj256ELj3ELb1EJPxPiS1_jEEvDpT3_,@function
_Z6kernelI27subtract_right_partial_tileLj256ELj3ELb1EJPxPiS1_jEEvDpT3_: ; @_Z6kernelI27subtract_right_partial_tileLj256ELj3ELb1EJPxPiS1_jEEvDpT3_
; %bb.0:
	s_clause 0x1
	s_load_b128 s[4:7], s[0:1], 0x0
	s_load_b64 s[8:9], s[0:1], 0x10
	s_mov_b32 s13, 0
	s_mul_i32 s12, s15, 0x300
	v_lshlrev_b32_e32 v9, 3, v0
	s_lshl_b64 s[2:3], s[12:13], 3
	s_mov_b32 s10, s15
	v_mad_u32_u24 v10, v0, 3, 1
	v_mad_u32_u24 v11, v0, 3, 2
	v_mad_u32_u24 v12, v0, 3, 3
	v_or_b32_e32 v13, 0x800, v9
	s_waitcnt lgkmcnt(0)
	s_add_u32 s4, s4, s2
	s_addc_u32 s5, s5, s3
	v_add_co_u32 v1, s11, s4, v9
	s_delay_alu instid0(VALU_DEP_1) | instskip(SKIP_1) | instid1(VALU_DEP_2)
	v_add_co_ci_u32_e64 v2, null, s5, 0, s11
	s_mov_b32 s11, s13
	v_add_co_u32 v5, vcc_lo, 0x1000, v1
	s_delay_alu instid0(VALU_DEP_2)
	v_add_co_ci_u32_e32 v6, vcc_lo, 0, v2, vcc_lo
	s_clause 0x2
	global_load_b64 v[1:2], v9, s[4:5]
	global_load_b64 v[3:4], v9, s[4:5] offset:2048
	global_load_b64 v[5:6], v[5:6], off
	s_load_b32 s5, s[0:1], 0x18
	s_lshl_b64 s[0:1], s[10:11], 2
	s_delay_alu instid0(SALU_CYCLE_1) | instskip(SKIP_4) | instid1(VALU_DEP_1)
	s_add_u32 s0, s6, s0
	s_addc_u32 s1, s7, s1
	s_waitcnt lgkmcnt(0)
	v_cvt_f32_u32_e32 v7, s5
	s_sub_i32 s6, 0, s5
	v_rcp_iflag_f32_e32 v7, v7
	s_waitcnt_depctr 0xfff
	v_mul_f32_e32 v7, 0x4f7ffffe, v7
	s_delay_alu instid0(VALU_DEP_1) | instskip(NEXT) | instid1(VALU_DEP_1)
	v_cvt_u32_f32_e32 v7, v7
	v_readfirstlane_b32 s4, v7
	s_delay_alu instid0(VALU_DEP_1) | instskip(NEXT) | instid1(SALU_CYCLE_1)
	s_mul_i32 s6, s6, s4
	s_mul_hi_u32 s6, s4, s6
	s_delay_alu instid0(SALU_CYCLE_1) | instskip(NEXT) | instid1(SALU_CYCLE_1)
	s_add_i32 s4, s4, s6
	s_mul_hi_u32 s6, s4, 0x300
	s_load_b32 s4, s[0:1], 0x0
	s_mul_i32 s7, s6, s5
	s_add_i32 s1, s6, 1
	s_sub_i32 s0, 0x300, s7
	s_delay_alu instid0(SALU_CYCLE_1)
	s_sub_i32 s7, s0, s5
	s_cmp_ge_u32 s0, s5
	s_cselect_b32 s1, s1, s6
	s_cselect_b32 s0, s7, s0
	s_add_i32 s6, s1, 1
	s_cmp_ge_u32 s0, s5
	s_cselect_b32 s1, s6, s1
	s_max_u32 s5, s5, 1
	s_add_i32 s1, s1, 1
	s_branch .LBB229_2
.LBB229_1:                              ;   in Loop: Header=BB229_2 Depth=1
	s_or_b32 exec_lo, exec_lo, s0
	v_cmp_gt_u32_e32 vcc_lo, s4, v10
	v_cmp_gt_u32_e64 s0, s4, v11
	s_add_i32 s4, s1, s4
	s_add_i32 s5, s5, -1
	v_dual_cndmask_b32 v14, 0, v4 :: v_dual_cndmask_b32 v15, 0, v3
	s_delay_alu instid0(VALU_DEP_2)
	v_cndmask_b32_e64 v17, 0, v5, s0
	v_cndmask_b32_e64 v16, 0, v6, s0
	s_mul_hi_u32 s0, s4, 0xaaaaaaab
	s_barrier
	v_sub_co_u32 v15, vcc_lo, v1, v15
	v_sub_co_ci_u32_e32 v14, vcc_lo, v2, v14, vcc_lo
	v_sub_co_u32 v17, vcc_lo, v3, v17
	v_sub_co_ci_u32_e32 v16, vcc_lo, v4, v16, vcc_lo
	s_delay_alu instid0(VALU_DEP_4) | instskip(NEXT) | instid1(VALU_DEP_4)
	v_add_co_u32 v1, vcc_lo, v15, v1
	v_add_co_ci_u32_e32 v2, vcc_lo, v14, v2, vcc_lo
	s_delay_alu instid0(VALU_DEP_4) | instskip(NEXT) | instid1(VALU_DEP_4)
	v_add_co_u32 v3, vcc_lo, v17, v3
	v_add_co_ci_u32_e32 v4, vcc_lo, v16, v4, vcc_lo
	s_lshr_b32 s0, s0, 9
	v_add_co_u32 v5, vcc_lo, v7, v5
	s_mulk_i32 s0, 0x300
	v_add_co_ci_u32_e32 v6, vcc_lo, v8, v6, vcc_lo
	s_sub_i32 s4, s4, s0
	s_cmp_lg_u32 s5, 0
	buffer_gl0_inv
	s_cbranch_scc0 .LBB229_4
.LBB229_2:                              ; =>This Inner Loop Header: Depth=1
	s_waitcnt vmcnt(0)
	v_dual_mov_b32 v8, v6 :: v_dual_mov_b32 v7, v5
	s_mov_b32 s0, exec_lo
	ds_store_b64 v9, v[1:2] offset:2048
	s_waitcnt lgkmcnt(0)
	s_barrier
	buffer_gl0_inv
	v_cmpx_gt_u32_e64 s4, v12
	s_cbranch_execz .LBB229_1
; %bb.3:                                ;   in Loop: Header=BB229_2 Depth=1
	ds_load_b64 v[7:8], v13 offset:8
	s_waitcnt lgkmcnt(0)
	v_sub_co_u32 v7, vcc_lo, v5, v7
	v_sub_co_ci_u32_e32 v8, vcc_lo, v6, v8, vcc_lo
	s_branch .LBB229_1
.LBB229_4:
	v_lshlrev_b32_e32 v0, 3, v0
	s_add_u32 s0, s8, s2
	s_addc_u32 s1, s9, s3
	s_delay_alu instid0(VALU_DEP_1) | instskip(NEXT) | instid1(VALU_DEP_1)
	v_add_co_u32 v7, s2, s0, v0
	v_add_co_ci_u32_e64 v8, null, s1, 0, s2
	s_delay_alu instid0(VALU_DEP_2) | instskip(NEXT) | instid1(VALU_DEP_2)
	v_add_co_u32 v7, vcc_lo, 0x1000, v7
	v_add_co_ci_u32_e32 v8, vcc_lo, 0, v8, vcc_lo
	s_clause 0x2
	global_store_b64 v0, v[1:2], s[0:1]
	global_store_b64 v0, v[3:4], s[0:1] offset:2048
	global_store_b64 v[7:8], v[5:6], off
	s_nop 0
	s_sendmsg sendmsg(MSG_DEALLOC_VGPRS)
	s_endpgm
	.section	.rodata,"a",@progbits
	.p2align	6, 0x0
	.amdhsa_kernel _Z6kernelI27subtract_right_partial_tileLj256ELj3ELb1EJPxPiS1_jEEvDpT3_
		.amdhsa_group_segment_fixed_size 4096
		.amdhsa_private_segment_fixed_size 0
		.amdhsa_kernarg_size 28
		.amdhsa_user_sgpr_count 15
		.amdhsa_user_sgpr_dispatch_ptr 0
		.amdhsa_user_sgpr_queue_ptr 0
		.amdhsa_user_sgpr_kernarg_segment_ptr 1
		.amdhsa_user_sgpr_dispatch_id 0
		.amdhsa_user_sgpr_private_segment_size 0
		.amdhsa_wavefront_size32 1
		.amdhsa_uses_dynamic_stack 0
		.amdhsa_enable_private_segment 0
		.amdhsa_system_sgpr_workgroup_id_x 1
		.amdhsa_system_sgpr_workgroup_id_y 0
		.amdhsa_system_sgpr_workgroup_id_z 0
		.amdhsa_system_sgpr_workgroup_info 0
		.amdhsa_system_vgpr_workitem_id 0
		.amdhsa_next_free_vgpr 18
		.amdhsa_next_free_sgpr 16
		.amdhsa_reserve_vcc 1
		.amdhsa_float_round_mode_32 0
		.amdhsa_float_round_mode_16_64 0
		.amdhsa_float_denorm_mode_32 3
		.amdhsa_float_denorm_mode_16_64 3
		.amdhsa_dx10_clamp 1
		.amdhsa_ieee_mode 1
		.amdhsa_fp16_overflow 0
		.amdhsa_workgroup_processor_mode 1
		.amdhsa_memory_ordered 1
		.amdhsa_forward_progress 0
		.amdhsa_shared_vgpr_count 0
		.amdhsa_exception_fp_ieee_invalid_op 0
		.amdhsa_exception_fp_denorm_src 0
		.amdhsa_exception_fp_ieee_div_zero 0
		.amdhsa_exception_fp_ieee_overflow 0
		.amdhsa_exception_fp_ieee_underflow 0
		.amdhsa_exception_fp_ieee_inexact 0
		.amdhsa_exception_int_div_zero 0
	.end_amdhsa_kernel
	.section	.text._Z6kernelI27subtract_right_partial_tileLj256ELj3ELb1EJPxPiS1_jEEvDpT3_,"axG",@progbits,_Z6kernelI27subtract_right_partial_tileLj256ELj3ELb1EJPxPiS1_jEEvDpT3_,comdat
.Lfunc_end229:
	.size	_Z6kernelI27subtract_right_partial_tileLj256ELj3ELb1EJPxPiS1_jEEvDpT3_, .Lfunc_end229-_Z6kernelI27subtract_right_partial_tileLj256ELj3ELb1EJPxPiS1_jEEvDpT3_
                                        ; -- End function
	.section	.AMDGPU.csdata,"",@progbits
; Kernel info:
; codeLenInByte = 652
; NumSgprs: 18
; NumVgprs: 18
; ScratchSize: 0
; MemoryBound: 0
; FloatMode: 240
; IeeeMode: 1
; LDSByteSize: 4096 bytes/workgroup (compile time only)
; SGPRBlocks: 2
; VGPRBlocks: 2
; NumSGPRsForWavesPerEU: 18
; NumVGPRsForWavesPerEU: 18
; Occupancy: 16
; WaveLimiterHint : 1
; COMPUTE_PGM_RSRC2:SCRATCH_EN: 0
; COMPUTE_PGM_RSRC2:USER_SGPR: 15
; COMPUTE_PGM_RSRC2:TRAP_HANDLER: 0
; COMPUTE_PGM_RSRC2:TGID_X_EN: 1
; COMPUTE_PGM_RSRC2:TGID_Y_EN: 0
; COMPUTE_PGM_RSRC2:TGID_Z_EN: 0
; COMPUTE_PGM_RSRC2:TIDIG_COMP_CNT: 0
	.section	.text._Z6kernelI27subtract_right_partial_tileLj256ELj4ELb1EJPxPiS1_jEEvDpT3_,"axG",@progbits,_Z6kernelI27subtract_right_partial_tileLj256ELj4ELb1EJPxPiS1_jEEvDpT3_,comdat
	.protected	_Z6kernelI27subtract_right_partial_tileLj256ELj4ELb1EJPxPiS1_jEEvDpT3_ ; -- Begin function _Z6kernelI27subtract_right_partial_tileLj256ELj4ELb1EJPxPiS1_jEEvDpT3_
	.globl	_Z6kernelI27subtract_right_partial_tileLj256ELj4ELb1EJPxPiS1_jEEvDpT3_
	.p2align	8
	.type	_Z6kernelI27subtract_right_partial_tileLj256ELj4ELb1EJPxPiS1_jEEvDpT3_,@function
_Z6kernelI27subtract_right_partial_tileLj256ELj4ELb1EJPxPiS1_jEEvDpT3_: ; @_Z6kernelI27subtract_right_partial_tileLj256ELj4ELb1EJPxPiS1_jEEvDpT3_
; %bb.0:
	s_clause 0x1
	s_load_b128 s[4:7], s[0:1], 0x0
	s_load_b64 s[8:9], s[0:1], 0x10
	s_mov_b32 s13, 0
	s_lshl_b32 s12, s15, 10
	v_lshlrev_b32_e32 v11, 3, v0
	s_lshl_b64 s[2:3], s[12:13], 3
	s_mov_b32 s10, s15
	s_delay_alu instid0(VALU_DEP_1) | instskip(SKIP_4) | instid1(VALU_DEP_1)
	v_or_b32_e32 v16, 0x800, v11
	s_waitcnt lgkmcnt(0)
	s_add_u32 s4, s4, s2
	s_addc_u32 s5, s5, s3
	v_add_co_u32 v1, s11, s4, v11
	v_add_co_ci_u32_e64 v2, null, s5, 0, s11
	s_mov_b32 s11, s13
	s_delay_alu instid0(VALU_DEP_2) | instskip(NEXT) | instid1(VALU_DEP_2)
	v_add_co_u32 v7, vcc_lo, 0x1000, v1
	v_add_co_ci_u32_e32 v8, vcc_lo, 0, v2, vcc_lo
	s_clause 0x3
	global_load_b64 v[1:2], v11, s[4:5]
	global_load_b64 v[3:4], v11, s[4:5] offset:2048
	global_load_b64 v[5:6], v[7:8], off
	global_load_b64 v[7:8], v[7:8], off offset:2048
	s_load_b32 s5, s[0:1], 0x18
	s_lshl_b64 s[0:1], s[10:11], 2
	s_delay_alu instid0(SALU_CYCLE_1)
	s_add_u32 s0, s6, s0
	s_addc_u32 s1, s7, s1
	s_load_b32 s1, s[0:1], 0x0
	s_waitcnt lgkmcnt(0)
	v_cvt_f32_u32_e32 v9, s5
	s_sub_i32 s6, 0, s5
	s_delay_alu instid0(VALU_DEP_1) | instskip(SKIP_2) | instid1(VALU_DEP_1)
	v_rcp_iflag_f32_e32 v9, v9
	s_waitcnt_depctr 0xfff
	v_mul_f32_e32 v9, 0x4f7ffffe, v9
	v_cvt_u32_f32_e32 v9, v9
	s_delay_alu instid0(VALU_DEP_1) | instskip(SKIP_1) | instid1(VALU_DEP_2)
	v_readfirstlane_b32 s4, v9
	v_lshlrev_b32_e32 v9, 2, v0
	s_mul_i32 s6, s6, s4
	s_delay_alu instid0(VALU_DEP_1)
	v_or_b32_e32 v12, 1, v9
	s_mul_hi_u32 s6, s4, s6
	v_or_b32_e32 v13, 2, v9
	s_add_i32 s4, s4, s6
	v_or_b32_e32 v14, 3, v9
	s_lshr_b32 s4, s4, 22
	v_add_nc_u32_e32 v15, 4, v9
	s_mul_i32 s6, s4, s5
	s_delay_alu instid0(SALU_CYCLE_1)
	s_sub_i32 s0, 0x400, s6
	s_add_i32 s6, s4, 1
	s_sub_i32 s7, s0, s5
	s_cmp_ge_u32 s0, s5
	s_cselect_b32 s4, s6, s4
	s_cselect_b32 s0, s7, s0
	s_add_i32 s6, s4, 1
	s_cmp_ge_u32 s0, s5
	s_cselect_b32 s4, s6, s4
	s_max_u32 s5, s5, 1
	s_add_i32 s4, s4, 1
	s_branch .LBB230_2
.LBB230_1:                              ;   in Loop: Header=BB230_2 Depth=1
	s_or_b32 exec_lo, exec_lo, s0
	v_cmp_gt_u32_e32 vcc_lo, s1, v12
	v_cmp_gt_u32_e64 s0, s1, v13
	s_add_i32 s5, s5, -1
	s_barrier
	v_dual_cndmask_b32 v17, 0, v4 :: v_dual_cndmask_b32 v18, 0, v3
	v_cmp_gt_u32_e32 vcc_lo, s1, v14
	v_cndmask_b32_e64 v20, 0, v5, s0
	v_cndmask_b32_e64 v19, 0, v6, s0
	buffer_gl0_inv
	v_sub_co_u32 v18, s0, v1, v18
	v_dual_cndmask_b32 v21, 0, v8 :: v_dual_cndmask_b32 v22, 0, v7
	v_sub_co_u32 v20, vcc_lo, v3, v20
	v_sub_co_ci_u32_e32 v19, vcc_lo, v4, v19, vcc_lo
	v_sub_co_ci_u32_e64 v17, s0, v2, v17, s0
	s_delay_alu instid0(VALU_DEP_4) | instskip(SKIP_2) | instid1(VALU_DEP_4)
	v_sub_co_u32 v22, vcc_lo, v5, v22
	v_sub_co_ci_u32_e32 v21, vcc_lo, v6, v21, vcc_lo
	v_add_co_u32 v1, vcc_lo, v18, v1
	v_add_co_ci_u32_e32 v2, vcc_lo, v17, v2, vcc_lo
	v_add_co_u32 v3, vcc_lo, v20, v3
	v_add_co_ci_u32_e32 v4, vcc_lo, v19, v4, vcc_lo
	;; [unrolled: 2-line block ×3, first 2 shown]
	v_add_co_u32 v7, vcc_lo, v9, v7
	s_add_i32 s0, s4, s1
	v_add_co_ci_u32_e32 v8, vcc_lo, v10, v8, vcc_lo
	s_and_b32 s1, s0, 0x3ff
	s_cmp_lg_u32 s5, 0
	s_cbranch_scc0 .LBB230_4
.LBB230_2:                              ; =>This Inner Loop Header: Depth=1
	s_waitcnt vmcnt(0)
	v_dual_mov_b32 v10, v8 :: v_dual_mov_b32 v9, v7
	s_mov_b32 s0, exec_lo
	ds_store_b64 v11, v[1:2] offset:2048
	s_waitcnt lgkmcnt(0)
	s_barrier
	buffer_gl0_inv
	v_cmpx_gt_u32_e64 s1, v15
	s_cbranch_execz .LBB230_1
; %bb.3:                                ;   in Loop: Header=BB230_2 Depth=1
	ds_load_b64 v[9:10], v16 offset:8
	s_waitcnt lgkmcnt(0)
	v_sub_co_u32 v9, vcc_lo, v7, v9
	v_sub_co_ci_u32_e32 v10, vcc_lo, v8, v10, vcc_lo
	s_branch .LBB230_1
.LBB230_4:
	v_lshlrev_b32_e32 v0, 3, v0
	s_add_u32 s0, s8, s2
	s_addc_u32 s1, s9, s3
	s_delay_alu instid0(VALU_DEP_1) | instskip(NEXT) | instid1(VALU_DEP_1)
	v_add_co_u32 v9, s2, s0, v0
	v_add_co_ci_u32_e64 v10, null, s1, 0, s2
	s_delay_alu instid0(VALU_DEP_2) | instskip(NEXT) | instid1(VALU_DEP_2)
	v_add_co_u32 v9, vcc_lo, 0x1000, v9
	v_add_co_ci_u32_e32 v10, vcc_lo, 0, v10, vcc_lo
	s_clause 0x3
	global_store_b64 v0, v[1:2], s[0:1]
	global_store_b64 v0, v[3:4], s[0:1] offset:2048
	global_store_b64 v[9:10], v[5:6], off
	global_store_b64 v[9:10], v[7:8], off offset:2048
	s_nop 0
	s_sendmsg sendmsg(MSG_DEALLOC_VGPRS)
	s_endpgm
	.section	.rodata,"a",@progbits
	.p2align	6, 0x0
	.amdhsa_kernel _Z6kernelI27subtract_right_partial_tileLj256ELj4ELb1EJPxPiS1_jEEvDpT3_
		.amdhsa_group_segment_fixed_size 4096
		.amdhsa_private_segment_fixed_size 0
		.amdhsa_kernarg_size 28
		.amdhsa_user_sgpr_count 15
		.amdhsa_user_sgpr_dispatch_ptr 0
		.amdhsa_user_sgpr_queue_ptr 0
		.amdhsa_user_sgpr_kernarg_segment_ptr 1
		.amdhsa_user_sgpr_dispatch_id 0
		.amdhsa_user_sgpr_private_segment_size 0
		.amdhsa_wavefront_size32 1
		.amdhsa_uses_dynamic_stack 0
		.amdhsa_enable_private_segment 0
		.amdhsa_system_sgpr_workgroup_id_x 1
		.amdhsa_system_sgpr_workgroup_id_y 0
		.amdhsa_system_sgpr_workgroup_id_z 0
		.amdhsa_system_sgpr_workgroup_info 0
		.amdhsa_system_vgpr_workitem_id 0
		.amdhsa_next_free_vgpr 23
		.amdhsa_next_free_sgpr 16
		.amdhsa_reserve_vcc 1
		.amdhsa_float_round_mode_32 0
		.amdhsa_float_round_mode_16_64 0
		.amdhsa_float_denorm_mode_32 3
		.amdhsa_float_denorm_mode_16_64 3
		.amdhsa_dx10_clamp 1
		.amdhsa_ieee_mode 1
		.amdhsa_fp16_overflow 0
		.amdhsa_workgroup_processor_mode 1
		.amdhsa_memory_ordered 1
		.amdhsa_forward_progress 0
		.amdhsa_shared_vgpr_count 0
		.amdhsa_exception_fp_ieee_invalid_op 0
		.amdhsa_exception_fp_denorm_src 0
		.amdhsa_exception_fp_ieee_div_zero 0
		.amdhsa_exception_fp_ieee_overflow 0
		.amdhsa_exception_fp_ieee_underflow 0
		.amdhsa_exception_fp_ieee_inexact 0
		.amdhsa_exception_int_div_zero 0
	.end_amdhsa_kernel
	.section	.text._Z6kernelI27subtract_right_partial_tileLj256ELj4ELb1EJPxPiS1_jEEvDpT3_,"axG",@progbits,_Z6kernelI27subtract_right_partial_tileLj256ELj4ELb1EJPxPiS1_jEEvDpT3_,comdat
.Lfunc_end230:
	.size	_Z6kernelI27subtract_right_partial_tileLj256ELj4ELb1EJPxPiS1_jEEvDpT3_, .Lfunc_end230-_Z6kernelI27subtract_right_partial_tileLj256ELj4ELb1EJPxPiS1_jEEvDpT3_
                                        ; -- End function
	.section	.AMDGPU.csdata,"",@progbits
; Kernel info:
; codeLenInByte = 676
; NumSgprs: 18
; NumVgprs: 23
; ScratchSize: 0
; MemoryBound: 0
; FloatMode: 240
; IeeeMode: 1
; LDSByteSize: 4096 bytes/workgroup (compile time only)
; SGPRBlocks: 2
; VGPRBlocks: 2
; NumSGPRsForWavesPerEU: 18
; NumVGPRsForWavesPerEU: 23
; Occupancy: 16
; WaveLimiterHint : 1
; COMPUTE_PGM_RSRC2:SCRATCH_EN: 0
; COMPUTE_PGM_RSRC2:USER_SGPR: 15
; COMPUTE_PGM_RSRC2:TRAP_HANDLER: 0
; COMPUTE_PGM_RSRC2:TGID_X_EN: 1
; COMPUTE_PGM_RSRC2:TGID_Y_EN: 0
; COMPUTE_PGM_RSRC2:TGID_Z_EN: 0
; COMPUTE_PGM_RSRC2:TIDIG_COMP_CNT: 0
	.section	.text._Z6kernelI27subtract_right_partial_tileLj256ELj8ELb1EJPxPiS1_jEEvDpT3_,"axG",@progbits,_Z6kernelI27subtract_right_partial_tileLj256ELj8ELb1EJPxPiS1_jEEvDpT3_,comdat
	.protected	_Z6kernelI27subtract_right_partial_tileLj256ELj8ELb1EJPxPiS1_jEEvDpT3_ ; -- Begin function _Z6kernelI27subtract_right_partial_tileLj256ELj8ELb1EJPxPiS1_jEEvDpT3_
	.globl	_Z6kernelI27subtract_right_partial_tileLj256ELj8ELb1EJPxPiS1_jEEvDpT3_
	.p2align	8
	.type	_Z6kernelI27subtract_right_partial_tileLj256ELj8ELb1EJPxPiS1_jEEvDpT3_,@function
_Z6kernelI27subtract_right_partial_tileLj256ELj8ELb1EJPxPiS1_jEEvDpT3_: ; @_Z6kernelI27subtract_right_partial_tileLj256ELj8ELb1EJPxPiS1_jEEvDpT3_
; %bb.0:
	s_clause 0x1
	s_load_b128 s[4:7], s[0:1], 0x0
	s_load_b64 s[8:9], s[0:1], 0x10
	s_mov_b32 s13, 0
	s_lshl_b32 s12, s15, 11
	v_lshlrev_b32_e32 v19, 3, v0
	s_lshl_b64 s[2:3], s[12:13], 3
	s_load_b32 s12, s[0:1], 0x18
	s_mov_b32 s10, s15
	s_delay_alu instid0(VALU_DEP_1)
	v_or_b32_e32 v20, 1, v19
	v_or_b32_e32 v21, 2, v19
	;; [unrolled: 1-line block ×7, first 2 shown]
	v_add_nc_u32_e32 v27, 8, v19
	v_or_b32_e32 v28, 0x800, v19
	s_waitcnt lgkmcnt(0)
	s_add_u32 s4, s4, s2
	s_addc_u32 s5, s5, s3
	v_add_co_u32 v5, s11, s4, v19
	s_delay_alu instid0(VALU_DEP_1)
	v_add_co_ci_u32_e64 v6, null, s5, 0, s11
	s_clause 0x1
	global_load_b64 v[3:4], v19, s[4:5]
	global_load_b64 v[1:2], v19, s[4:5] offset:2048
	v_add_co_u32 v7, vcc_lo, 0x1000, v5
	v_add_co_ci_u32_e32 v8, vcc_lo, 0, v6, vcc_lo
	v_add_co_u32 v9, vcc_lo, v5, 0x2000
	v_add_co_ci_u32_e32 v10, vcc_lo, 0, v6, vcc_lo
	;; [unrolled: 2-line block ×4, first 2 shown]
	s_clause 0x5
	global_load_b64 v[5:6], v[9:10], off offset:-4096
	global_load_b64 v[15:16], v[9:10], off
	global_load_b64 v[13:14], v[7:8], off offset:2048
	global_load_b64 v[11:12], v[11:12], off offset:2048
	global_load_b64 v[9:10], v[17:18], off
	global_load_b64 v[7:8], v[17:18], off offset:2048
	v_cvt_f32_u32_e32 v17, s12
	s_mov_b32 s11, s13
	s_delay_alu instid0(SALU_CYCLE_1) | instskip(NEXT) | instid1(VALU_DEP_1)
	s_lshl_b64 s[0:1], s[10:11], 2
	v_rcp_iflag_f32_e32 v17, v17
	s_add_u32 s0, s6, s0
	s_addc_u32 s1, s7, s1
	s_sub_i32 s5, 0, s12
	s_waitcnt_depctr 0xfff
	v_mul_f32_e32 v17, 0x4f7ffffe, v17
	s_delay_alu instid0(VALU_DEP_1) | instskip(NEXT) | instid1(VALU_DEP_1)
	v_cvt_u32_f32_e32 v17, v17
	v_readfirstlane_b32 s4, v17
	s_delay_alu instid0(VALU_DEP_1) | instskip(NEXT) | instid1(SALU_CYCLE_1)
	s_mul_i32 s5, s5, s4
	s_mul_hi_u32 s5, s4, s5
	s_delay_alu instid0(SALU_CYCLE_1) | instskip(NEXT) | instid1(SALU_CYCLE_1)
	s_add_i32 s4, s4, s5
	s_lshr_b32 s5, s4, 21
	s_delay_alu instid0(SALU_CYCLE_1)
	s_mul_i32 s4, s5, s12
	s_add_i32 s7, s5, 1
	s_sub_i32 s6, 0x800, s4
	s_load_b32 s4, s[0:1], 0x0
	s_sub_i32 s10, s6, s12
	s_cmp_ge_u32 s6, s12
	s_cselect_b32 s0, s7, s5
	s_cselect_b32 s1, s10, s6
	s_add_i32 s5, s0, 1
	s_cmp_ge_u32 s1, s12
	s_cselect_b32 s5, s5, s0
	s_max_u32 s6, s12, 1
	s_add_i32 s5, s5, 1
	s_branch .LBB231_2
.LBB231_1:                              ;   in Loop: Header=BB231_2 Depth=1
	s_or_b32 exec_lo, exec_lo, s0
	v_cmp_gt_u32_e32 vcc_lo, s4, v20
	v_cmp_gt_u32_e64 s0, s4, v21
	s_add_i32 s6, s6, -1
	s_barrier
	v_dual_cndmask_b32 v29, 0, v2 :: v_dual_cndmask_b32 v30, 0, v1
	v_cmp_gt_u32_e32 vcc_lo, s4, v22
	v_cndmask_b32_e64 v32, 0, v5, s0
	v_cndmask_b32_e64 v31, 0, v6, s0
	buffer_gl0_inv
	v_sub_co_u32 v30, s0, v3, v30
	v_dual_cndmask_b32 v33, 0, v14 :: v_dual_cndmask_b32 v34, 0, v13
	v_cmp_gt_u32_e32 vcc_lo, s4, v23
	v_sub_co_ci_u32_e64 v29, s0, v4, v29, s0
	v_sub_co_u32 v32, s0, v1, v32
	v_dual_cndmask_b32 v35, 0, v16 :: v_dual_cndmask_b32 v36, 0, v15
	v_sub_co_u32 v34, vcc_lo, v5, v34
	v_sub_co_ci_u32_e32 v33, vcc_lo, v6, v33, vcc_lo
	v_cmp_gt_u32_e32 vcc_lo, s4, v24
	v_sub_co_ci_u32_e64 v31, s0, v2, v31, s0
	v_cmp_gt_u32_e64 s0, s4, v25
	v_sub_co_u32 v36, s1, v13, v36
	v_dual_cndmask_b32 v37, 0, v12 :: v_dual_cndmask_b32 v38, 0, v11
	v_cmp_gt_u32_e32 vcc_lo, s4, v26
	s_delay_alu instid0(VALU_DEP_4) | instskip(SKIP_3) | instid1(VALU_DEP_4)
	v_cndmask_b32_e64 v40, 0, v9, s0
	v_cndmask_b32_e64 v39, 0, v10, s0
	v_sub_co_ci_u32_e64 v35, s1, v14, v35, s1
	v_dual_cndmask_b32 v41, 0, v8 :: v_dual_cndmask_b32 v42, 0, v7
	v_sub_co_u32 v40, vcc_lo, v11, v40
	s_delay_alu instid0(VALU_DEP_4) | instskip(NEXT) | instid1(VALU_DEP_3)
	v_sub_co_ci_u32_e32 v39, vcc_lo, v12, v39, vcc_lo
	v_sub_co_u32 v42, vcc_lo, v9, v42
	s_delay_alu instid0(VALU_DEP_4)
	v_sub_co_ci_u32_e32 v41, vcc_lo, v10, v41, vcc_lo
	v_add_co_u32 v3, vcc_lo, v30, v3
	v_add_co_ci_u32_e32 v4, vcc_lo, v29, v4, vcc_lo
	v_add_co_u32 v1, vcc_lo, v32, v1
	v_add_co_ci_u32_e32 v2, vcc_lo, v31, v2, vcc_lo
	v_add_co_u32 v5, vcc_lo, v34, v5
	v_sub_co_u32 v38, s0, v15, v38
	v_add_co_ci_u32_e32 v6, vcc_lo, v33, v6, vcc_lo
	v_sub_co_ci_u32_e64 v37, s0, v16, v37, s0
	v_add_co_u32 v13, vcc_lo, v36, v13
	v_add_co_ci_u32_e32 v14, vcc_lo, v35, v14, vcc_lo
	v_add_co_u32 v15, vcc_lo, v38, v15
	s_delay_alu instid0(VALU_DEP_4)
	v_add_co_ci_u32_e32 v16, vcc_lo, v37, v16, vcc_lo
	v_add_co_u32 v11, vcc_lo, v40, v11
	v_add_co_ci_u32_e32 v12, vcc_lo, v39, v12, vcc_lo
	v_add_co_u32 v9, vcc_lo, v42, v9
	;; [unrolled: 2-line block ×3, first 2 shown]
	s_add_i32 s0, s5, s4
	v_add_co_ci_u32_e32 v8, vcc_lo, v18, v8, vcc_lo
	s_and_b32 s4, s0, 0x7ff
	s_cmp_lg_u32 s6, 0
	s_cbranch_scc0 .LBB231_4
.LBB231_2:                              ; =>This Inner Loop Header: Depth=1
	s_waitcnt vmcnt(0)
	v_dual_mov_b32 v18, v8 :: v_dual_mov_b32 v17, v7
	s_mov_b32 s0, exec_lo
	ds_store_b64 v19, v[3:4] offset:2048
	s_waitcnt lgkmcnt(0)
	s_barrier
	buffer_gl0_inv
	v_cmpx_gt_u32_e64 s4, v27
	s_cbranch_execz .LBB231_1
; %bb.3:                                ;   in Loop: Header=BB231_2 Depth=1
	ds_load_b64 v[17:18], v28 offset:8
	s_waitcnt lgkmcnt(0)
	v_sub_co_u32 v17, vcc_lo, v7, v17
	v_sub_co_ci_u32_e32 v18, vcc_lo, v8, v18, vcc_lo
	s_branch .LBB231_1
.LBB231_4:
	v_lshlrev_b32_e32 v0, 3, v0
	s_add_u32 s0, s8, s2
	s_addc_u32 s1, s9, s3
	s_delay_alu instid0(VALU_DEP_1) | instskip(NEXT) | instid1(VALU_DEP_1)
	v_add_co_u32 v23, s2, s0, v0
	v_add_co_ci_u32_e64 v24, null, s1, 0, s2
	s_delay_alu instid0(VALU_DEP_2) | instskip(NEXT) | instid1(VALU_DEP_2)
	v_add_co_u32 v17, vcc_lo, 0x1000, v23
	v_add_co_ci_u32_e32 v18, vcc_lo, 0, v24, vcc_lo
	v_add_co_u32 v19, vcc_lo, v23, 0x2000
	v_add_co_ci_u32_e32 v20, vcc_lo, 0, v24, vcc_lo
	;; [unrolled: 2-line block ×3, first 2 shown]
	global_store_b64 v[19:20], v[15:16], off
	v_add_co_u32 v15, vcc_lo, 0x3000, v23
	v_add_co_ci_u32_e32 v16, vcc_lo, 0, v24, vcc_lo
	s_clause 0x6
	global_store_b64 v0, v[3:4], s[0:1]
	global_store_b64 v0, v[1:2], s[0:1] offset:2048
	global_store_b64 v[17:18], v[13:14], off offset:2048
	global_store_b64 v[21:22], v[11:12], off offset:2048
	global_store_b64 v[15:16], v[9:10], off
	global_store_b64 v[19:20], v[5:6], off offset:-4096
	global_store_b64 v[15:16], v[7:8], off offset:2048
	s_nop 0
	s_sendmsg sendmsg(MSG_DEALLOC_VGPRS)
	s_endpgm
	.section	.rodata,"a",@progbits
	.p2align	6, 0x0
	.amdhsa_kernel _Z6kernelI27subtract_right_partial_tileLj256ELj8ELb1EJPxPiS1_jEEvDpT3_
		.amdhsa_group_segment_fixed_size 4096
		.amdhsa_private_segment_fixed_size 0
		.amdhsa_kernarg_size 28
		.amdhsa_user_sgpr_count 15
		.amdhsa_user_sgpr_dispatch_ptr 0
		.amdhsa_user_sgpr_queue_ptr 0
		.amdhsa_user_sgpr_kernarg_segment_ptr 1
		.amdhsa_user_sgpr_dispatch_id 0
		.amdhsa_user_sgpr_private_segment_size 0
		.amdhsa_wavefront_size32 1
		.amdhsa_uses_dynamic_stack 0
		.amdhsa_enable_private_segment 0
		.amdhsa_system_sgpr_workgroup_id_x 1
		.amdhsa_system_sgpr_workgroup_id_y 0
		.amdhsa_system_sgpr_workgroup_id_z 0
		.amdhsa_system_sgpr_workgroup_info 0
		.amdhsa_system_vgpr_workitem_id 0
		.amdhsa_next_free_vgpr 43
		.amdhsa_next_free_sgpr 16
		.amdhsa_reserve_vcc 1
		.amdhsa_float_round_mode_32 0
		.amdhsa_float_round_mode_16_64 0
		.amdhsa_float_denorm_mode_32 3
		.amdhsa_float_denorm_mode_16_64 3
		.amdhsa_dx10_clamp 1
		.amdhsa_ieee_mode 1
		.amdhsa_fp16_overflow 0
		.amdhsa_workgroup_processor_mode 1
		.amdhsa_memory_ordered 1
		.amdhsa_forward_progress 0
		.amdhsa_shared_vgpr_count 0
		.amdhsa_exception_fp_ieee_invalid_op 0
		.amdhsa_exception_fp_denorm_src 0
		.amdhsa_exception_fp_ieee_div_zero 0
		.amdhsa_exception_fp_ieee_overflow 0
		.amdhsa_exception_fp_ieee_underflow 0
		.amdhsa_exception_fp_ieee_inexact 0
		.amdhsa_exception_int_div_zero 0
	.end_amdhsa_kernel
	.section	.text._Z6kernelI27subtract_right_partial_tileLj256ELj8ELb1EJPxPiS1_jEEvDpT3_,"axG",@progbits,_Z6kernelI27subtract_right_partial_tileLj256ELj8ELb1EJPxPiS1_jEEvDpT3_,comdat
.Lfunc_end231:
	.size	_Z6kernelI27subtract_right_partial_tileLj256ELj8ELb1EJPxPiS1_jEEvDpT3_, .Lfunc_end231-_Z6kernelI27subtract_right_partial_tileLj256ELj8ELb1EJPxPiS1_jEEvDpT3_
                                        ; -- End function
	.section	.AMDGPU.csdata,"",@progbits
; Kernel info:
; codeLenInByte = 1028
; NumSgprs: 18
; NumVgprs: 43
; ScratchSize: 0
; MemoryBound: 0
; FloatMode: 240
; IeeeMode: 1
; LDSByteSize: 4096 bytes/workgroup (compile time only)
; SGPRBlocks: 2
; VGPRBlocks: 5
; NumSGPRsForWavesPerEU: 18
; NumVGPRsForWavesPerEU: 43
; Occupancy: 16
; WaveLimiterHint : 1
; COMPUTE_PGM_RSRC2:SCRATCH_EN: 0
; COMPUTE_PGM_RSRC2:USER_SGPR: 15
; COMPUTE_PGM_RSRC2:TRAP_HANDLER: 0
; COMPUTE_PGM_RSRC2:TGID_X_EN: 1
; COMPUTE_PGM_RSRC2:TGID_Y_EN: 0
; COMPUTE_PGM_RSRC2:TGID_Z_EN: 0
; COMPUTE_PGM_RSRC2:TIDIG_COMP_CNT: 0
	.section	.text._Z6kernelI27subtract_right_partial_tileLj256ELj16ELb1EJPxPiS1_jEEvDpT3_,"axG",@progbits,_Z6kernelI27subtract_right_partial_tileLj256ELj16ELb1EJPxPiS1_jEEvDpT3_,comdat
	.protected	_Z6kernelI27subtract_right_partial_tileLj256ELj16ELb1EJPxPiS1_jEEvDpT3_ ; -- Begin function _Z6kernelI27subtract_right_partial_tileLj256ELj16ELb1EJPxPiS1_jEEvDpT3_
	.globl	_Z6kernelI27subtract_right_partial_tileLj256ELj16ELb1EJPxPiS1_jEEvDpT3_
	.p2align	8
	.type	_Z6kernelI27subtract_right_partial_tileLj256ELj16ELb1EJPxPiS1_jEEvDpT3_,@function
_Z6kernelI27subtract_right_partial_tileLj256ELj16ELb1EJPxPiS1_jEEvDpT3_: ; @_Z6kernelI27subtract_right_partial_tileLj256ELj16ELb1EJPxPiS1_jEEvDpT3_
; %bb.0:
	s_clause 0x1
	s_load_b128 s[4:7], s[0:1], 0x0
	s_load_b64 s[8:9], s[0:1], 0x10
	s_mov_b32 s13, 0
	s_lshl_b32 s12, s15, 12
	v_lshlrev_b32_e32 v35, 3, v0
	s_lshl_b64 s[2:3], s[12:13], 3
	s_load_b32 s12, s[0:1], 0x18
	s_mov_b32 s10, s15
	s_delay_alu instid0(VALU_DEP_1) | instskip(SKIP_4) | instid1(VALU_DEP_1)
	v_or_b32_e32 v52, 0x800, v35
	s_waitcnt lgkmcnt(0)
	s_add_u32 s4, s4, s2
	s_addc_u32 s5, s5, s3
	v_add_co_u32 v21, s11, s4, v35
	v_add_co_ci_u32_e64 v22, null, s5, 0, s11
	s_clause 0x1
	global_load_b64 v[11:12], v35, s[4:5]
	global_load_b64 v[9:10], v35, s[4:5] offset:2048
	v_add_co_u32 v3, vcc_lo, 0x1000, v21
	v_add_co_ci_u32_e32 v4, vcc_lo, 0, v22, vcc_lo
	v_add_co_u32 v5, vcc_lo, v21, 0x2000
	v_add_co_ci_u32_e32 v6, vcc_lo, 0, v22, vcc_lo
	v_add_co_u32 v15, vcc_lo, 0x2000, v21
	v_add_co_ci_u32_e32 v16, vcc_lo, 0, v22, vcc_lo
	v_add_co_u32 v17, vcc_lo, 0x3000, v21
	v_add_co_ci_u32_e32 v18, vcc_lo, 0, v22, vcc_lo
	v_add_co_u32 v13, vcc_lo, v21, 0x4000
	v_add_co_ci_u32_e32 v14, vcc_lo, 0, v22, vcc_lo
	v_add_co_u32 v19, vcc_lo, 0x4000, v21
	v_add_co_ci_u32_e32 v20, vcc_lo, 0, v22, vcc_lo
	s_clause 0x7
	global_load_b64 v[1:2], v[5:6], off offset:-4096
	global_load_b64 v[27:28], v[5:6], off
	global_load_b64 v[7:8], v[13:14], off offset:-4096
	global_load_b64 v[13:14], v[13:14], off
	global_load_b64 v[31:32], v[3:4], off offset:2048
	global_load_b64 v[29:30], v[15:16], off offset:2048
	;; [unrolled: 1-line block ×4, first 2 shown]
	v_add_co_u32 v15, vcc_lo, 0x5000, v21
	v_add_co_ci_u32_e32 v16, vcc_lo, 0, v22, vcc_lo
	v_add_co_u32 v17, vcc_lo, v21, 0x6000
	v_add_co_ci_u32_e32 v18, vcc_lo, 0, v22, vcc_lo
	v_add_co_u32 v19, vcc_lo, 0x6000, v21
	v_add_co_ci_u32_e32 v20, vcc_lo, 0, v22, vcc_lo
	v_add_co_u32 v33, vcc_lo, 0x7000, v21
	v_add_co_ci_u32_e32 v34, vcc_lo, 0, v22, vcc_lo
	s_clause 0x5
	global_load_b64 v[25:26], v[17:18], off offset:-4096
	global_load_b64 v[23:24], v[17:18], off
	global_load_b64 v[21:22], v[15:16], off offset:2048
	global_load_b64 v[19:20], v[19:20], off offset:2048
	global_load_b64 v[17:18], v[33:34], off
	global_load_b64 v[15:16], v[33:34], off offset:2048
	v_cvt_f32_u32_e32 v33, s12
	s_mov_b32 s11, s13
	s_delay_alu instid0(SALU_CYCLE_1) | instskip(NEXT) | instid1(VALU_DEP_1)
	s_lshl_b64 s[0:1], s[10:11], 2
	v_rcp_iflag_f32_e32 v33, v33
	s_add_u32 s0, s6, s0
	s_addc_u32 s1, s7, s1
	s_sub_i32 s5, 0, s12
	s_waitcnt_depctr 0xfff
	v_mul_f32_e32 v33, 0x4f7ffffe, v33
	s_delay_alu instid0(VALU_DEP_1) | instskip(NEXT) | instid1(VALU_DEP_1)
	v_cvt_u32_f32_e32 v33, v33
	v_readfirstlane_b32 s4, v33
	v_lshlrev_b32_e32 v33, 4, v0
	s_delay_alu instid0(VALU_DEP_2) | instskip(NEXT) | instid1(VALU_DEP_1)
	s_mul_i32 s5, s5, s4
	v_or_b32_e32 v36, 1, v33
	s_mul_hi_u32 s5, s4, s5
	v_or_b32_e32 v37, 2, v33
	s_add_i32 s4, s4, s5
	v_or_b32_e32 v38, 3, v33
	s_lshr_b32 s4, s4, 20
	v_or_b32_e32 v39, 4, v33
	s_mul_i32 s5, s4, s12
	s_add_i32 s6, s4, 1
	s_sub_i32 s5, 0x1000, s5
	v_or_b32_e32 v40, 5, v33
	s_sub_i32 s7, s5, s12
	s_cmp_ge_u32 s5, s12
	v_or_b32_e32 v41, 6, v33
	s_cselect_b32 s6, s6, s4
	s_cselect_b32 s4, s7, s5
	s_add_i32 s5, s6, 1
	s_cmp_ge_u32 s4, s12
	s_load_b32 s4, s[0:1], 0x0
	v_or_b32_e32 v42, 7, v33
	v_or_b32_e32 v43, 8, v33
	v_or_b32_e32 v44, 9, v33
	v_or_b32_e32 v45, 10, v33
	v_or_b32_e32 v46, 11, v33
	v_or_b32_e32 v47, 12, v33
	v_or_b32_e32 v48, 13, v33
	v_or_b32_e32 v49, 14, v33
	v_or_b32_e32 v50, 15, v33
	v_add_nc_u32_e32 v51, 16, v33
	s_cselect_b32 s5, s5, s6
	s_max_u32 s6, s12, 1
	s_add_i32 s5, s5, 1
	s_branch .LBB232_2
.LBB232_1:                              ;   in Loop: Header=BB232_2 Depth=1
	s_or_b32 exec_lo, exec_lo, s0
	v_cmp_gt_u32_e32 vcc_lo, s4, v36
	v_cmp_gt_u32_e64 s0, s4, v37
	s_add_i32 s6, s6, -1
	s_barrier
	v_dual_cndmask_b32 v53, 0, v10 :: v_dual_cndmask_b32 v54, 0, v9
	v_cmp_gt_u32_e32 vcc_lo, s4, v38
	v_cndmask_b32_e64 v56, 0, v1, s0
	v_cndmask_b32_e64 v55, 0, v2, s0
	buffer_gl0_inv
	v_sub_co_u32 v54, s0, v11, v54
	v_dual_cndmask_b32 v57, 0, v32 :: v_dual_cndmask_b32 v58, 0, v31
	v_sub_co_u32 v56, vcc_lo, v9, v56
	v_sub_co_ci_u32_e64 v53, s0, v12, v53, s0
	v_sub_co_ci_u32_e32 v55, vcc_lo, v10, v55, vcc_lo
	v_cmp_gt_u32_e32 vcc_lo, s4, v39
	v_cmp_gt_u32_e64 s0, s4, v40
	v_sub_co_u32 v58, s1, v1, v58
	s_delay_alu instid0(VALU_DEP_1) | instskip(SKIP_1) | instid1(VALU_DEP_4)
	v_sub_co_ci_u32_e64 v57, s1, v2, v57, s1
	v_dual_cndmask_b32 v59, 0, v28 :: v_dual_cndmask_b32 v60, 0, v27
	v_cndmask_b32_e64 v62, 0, v29, s0
	v_cmp_gt_u32_e32 vcc_lo, s4, v41
	v_cndmask_b32_e64 v61, 0, v30, s0
	s_delay_alu instid0(VALU_DEP_4)
	v_sub_co_u32 v60, s0, v31, v60
	v_dual_cndmask_b32 v63, 0, v8 :: v_dual_cndmask_b32 v64, 0, v7
	v_sub_co_u32 v62, vcc_lo, v27, v62
	v_sub_co_ci_u32_e64 v59, s0, v32, v59, s0
	v_sub_co_ci_u32_e32 v61, vcc_lo, v28, v61, vcc_lo
	v_cmp_gt_u32_e32 vcc_lo, s4, v42
	v_cmp_gt_u32_e64 s0, s4, v43
	v_sub_co_u32 v64, s1, v29, v64
	s_delay_alu instid0(VALU_DEP_1) | instskip(SKIP_1) | instid1(VALU_DEP_4)
	v_sub_co_ci_u32_e64 v63, s1, v30, v63, s1
	v_dual_cndmask_b32 v65, 0, v6 :: v_dual_cndmask_b32 v66, 0, v5
	v_cndmask_b32_e64 v68, 0, v13, s0
	v_cmp_gt_u32_e32 vcc_lo, s4, v44
	v_cndmask_b32_e64 v67, 0, v14, s0
	s_delay_alu instid0(VALU_DEP_4)
	v_sub_co_u32 v66, s0, v7, v66
	v_dual_cndmask_b32 v69, 0, v4 :: v_dual_cndmask_b32 v70, 0, v3
	v_sub_co_u32 v68, vcc_lo, v5, v68
	v_sub_co_ci_u32_e64 v65, s0, v8, v65, s0
	v_sub_co_ci_u32_e32 v67, vcc_lo, v6, v67, vcc_lo
	v_cmp_gt_u32_e32 vcc_lo, s4, v45
	v_cmp_gt_u32_e64 s0, s4, v46
	v_sub_co_u32 v70, s1, v13, v70
	s_delay_alu instid0(VALU_DEP_1) | instskip(SKIP_1) | instid1(VALU_DEP_4)
	v_sub_co_ci_u32_e64 v69, s1, v14, v69, s1
	v_dual_cndmask_b32 v71, 0, v26 :: v_dual_cndmask_b32 v72, 0, v25
	v_cndmask_b32_e64 v74, 0, v21, s0
	v_cmp_gt_u32_e32 vcc_lo, s4, v47
	v_cndmask_b32_e64 v73, 0, v22, s0
	s_delay_alu instid0(VALU_DEP_4) | instskip(SKIP_2) | instid1(VALU_DEP_4)
	v_sub_co_u32 v72, s0, v3, v72
	v_dual_cndmask_b32 v75, 0, v24 :: v_dual_cndmask_b32 v76, 0, v23
	v_sub_co_u32 v74, vcc_lo, v25, v74
	v_sub_co_ci_u32_e32 v73, vcc_lo, v26, v73, vcc_lo
	v_cmp_gt_u32_e32 vcc_lo, s4, v48
	v_sub_co_ci_u32_e64 v71, s0, v4, v71, s0
	v_cmp_gt_u32_e64 s0, s4, v49
	v_sub_co_u32 v76, s1, v21, v76
	v_dual_cndmask_b32 v77, 0, v20 :: v_dual_cndmask_b32 v78, 0, v19
	v_cmp_gt_u32_e32 vcc_lo, s4, v50
	s_delay_alu instid0(VALU_DEP_4) | instskip(SKIP_3) | instid1(VALU_DEP_4)
	v_cndmask_b32_e64 v80, 0, v17, s0
	v_cndmask_b32_e64 v79, 0, v18, s0
	v_sub_co_ci_u32_e64 v75, s1, v22, v75, s1
	v_dual_cndmask_b32 v81, 0, v16 :: v_dual_cndmask_b32 v82, 0, v15
	v_sub_co_u32 v80, vcc_lo, v19, v80
	s_delay_alu instid0(VALU_DEP_4) | instskip(NEXT) | instid1(VALU_DEP_3)
	v_sub_co_ci_u32_e32 v79, vcc_lo, v20, v79, vcc_lo
	v_sub_co_u32 v82, vcc_lo, v17, v82
	s_delay_alu instid0(VALU_DEP_4)
	v_sub_co_ci_u32_e32 v81, vcc_lo, v18, v81, vcc_lo
	v_add_co_u32 v11, vcc_lo, v54, v11
	v_add_co_ci_u32_e32 v12, vcc_lo, v53, v12, vcc_lo
	v_add_co_u32 v9, vcc_lo, v56, v9
	v_add_co_ci_u32_e32 v10, vcc_lo, v55, v10, vcc_lo
	v_add_co_u32 v1, vcc_lo, v58, v1
	v_add_co_ci_u32_e32 v2, vcc_lo, v57, v2, vcc_lo
	v_add_co_u32 v31, vcc_lo, v60, v31
	v_add_co_ci_u32_e32 v32, vcc_lo, v59, v32, vcc_lo
	v_add_co_u32 v27, vcc_lo, v62, v27
	v_add_co_ci_u32_e32 v28, vcc_lo, v61, v28, vcc_lo
	v_add_co_u32 v29, vcc_lo, v64, v29
	v_add_co_ci_u32_e32 v30, vcc_lo, v63, v30, vcc_lo
	v_add_co_u32 v7, vcc_lo, v66, v7
	v_add_co_ci_u32_e32 v8, vcc_lo, v65, v8, vcc_lo
	v_add_co_u32 v5, vcc_lo, v68, v5
	v_add_co_ci_u32_e32 v6, vcc_lo, v67, v6, vcc_lo
	v_add_co_u32 v13, vcc_lo, v70, v13
	v_add_co_ci_u32_e32 v14, vcc_lo, v69, v14, vcc_lo
	v_add_co_u32 v3, vcc_lo, v72, v3
	v_add_co_ci_u32_e32 v4, vcc_lo, v71, v4, vcc_lo
	v_add_co_u32 v25, vcc_lo, v74, v25
	v_sub_co_u32 v78, s0, v23, v78
	v_add_co_ci_u32_e32 v26, vcc_lo, v73, v26, vcc_lo
	v_sub_co_ci_u32_e64 v77, s0, v24, v77, s0
	v_add_co_u32 v21, vcc_lo, v76, v21
	v_add_co_ci_u32_e32 v22, vcc_lo, v75, v22, vcc_lo
	v_add_co_u32 v23, vcc_lo, v78, v23
	s_delay_alu instid0(VALU_DEP_4)
	v_add_co_ci_u32_e32 v24, vcc_lo, v77, v24, vcc_lo
	v_add_co_u32 v19, vcc_lo, v80, v19
	v_add_co_ci_u32_e32 v20, vcc_lo, v79, v20, vcc_lo
	v_add_co_u32 v17, vcc_lo, v82, v17
	;; [unrolled: 2-line block ×3, first 2 shown]
	s_add_i32 s0, s5, s4
	v_add_co_ci_u32_e32 v16, vcc_lo, v34, v16, vcc_lo
	s_and_b32 s4, s0, 0xfff
	s_cmp_lg_u32 s6, 0
	s_cbranch_scc0 .LBB232_4
.LBB232_2:                              ; =>This Inner Loop Header: Depth=1
	s_waitcnt vmcnt(0)
	v_dual_mov_b32 v34, v16 :: v_dual_mov_b32 v33, v15
	s_mov_b32 s0, exec_lo
	ds_store_b64 v35, v[11:12] offset:2048
	s_waitcnt lgkmcnt(0)
	s_barrier
	buffer_gl0_inv
	v_cmpx_gt_u32_e64 s4, v51
	s_cbranch_execz .LBB232_1
; %bb.3:                                ;   in Loop: Header=BB232_2 Depth=1
	ds_load_b64 v[33:34], v52 offset:8
	s_waitcnt lgkmcnt(0)
	v_sub_co_u32 v33, vcc_lo, v15, v33
	v_sub_co_ci_u32_e32 v34, vcc_lo, v16, v34, vcc_lo
	s_branch .LBB232_1
.LBB232_4:
	v_lshlrev_b32_e32 v0, 3, v0
	s_add_u32 s0, s8, s2
	s_addc_u32 s1, s9, s3
	s_delay_alu instid0(VALU_DEP_1) | instskip(NEXT) | instid1(VALU_DEP_1)
	v_add_co_u32 v39, s2, s0, v0
	v_add_co_ci_u32_e64 v40, null, s1, 0, s2
	s_delay_alu instid0(VALU_DEP_2) | instskip(NEXT) | instid1(VALU_DEP_2)
	v_add_co_u32 v33, vcc_lo, 0x1000, v39
	v_add_co_ci_u32_e32 v34, vcc_lo, 0, v40, vcc_lo
	v_add_co_u32 v35, vcc_lo, v39, 0x2000
	v_add_co_ci_u32_e32 v36, vcc_lo, 0, v40, vcc_lo
	;; [unrolled: 2-line block ×3, first 2 shown]
	s_clause 0x4
	global_store_b64 v[35:36], v[27:28], off
	global_store_b64 v0, v[11:12], s[0:1]
	global_store_b64 v0, v[9:10], s[0:1] offset:2048
	global_store_b64 v[33:34], v[31:32], off offset:2048
	global_store_b64 v[37:38], v[29:30], off offset:2048
	v_add_co_u32 v9, vcc_lo, 0x3000, v39
	v_add_co_ci_u32_e32 v10, vcc_lo, 0, v40, vcc_lo
	v_add_co_u32 v11, vcc_lo, v39, 0x4000
	v_add_co_ci_u32_e32 v12, vcc_lo, 0, v40, vcc_lo
	;; [unrolled: 2-line block ×6, first 2 shown]
	s_clause 0x3
	global_store_b64 v[11:12], v[7:8], off offset:-4096
	global_store_b64 v[11:12], v[13:14], off
	global_store_b64 v[31:32], v[25:26], off offset:-4096
	global_store_b64 v[31:32], v[23:24], off
	v_add_co_u32 v7, vcc_lo, 0x7000, v39
	v_add_co_ci_u32_e32 v8, vcc_lo, 0, v40, vcc_lo
	s_clause 0x6
	global_store_b64 v[9:10], v[5:6], off offset:2048
	global_store_b64 v[27:28], v[3:4], off offset:2048
	;; [unrolled: 1-line block ×4, first 2 shown]
	global_store_b64 v[7:8], v[17:18], off
	global_store_b64 v[35:36], v[1:2], off offset:-4096
	global_store_b64 v[7:8], v[15:16], off offset:2048
	s_nop 0
	s_sendmsg sendmsg(MSG_DEALLOC_VGPRS)
	s_endpgm
	.section	.rodata,"a",@progbits
	.p2align	6, 0x0
	.amdhsa_kernel _Z6kernelI27subtract_right_partial_tileLj256ELj16ELb1EJPxPiS1_jEEvDpT3_
		.amdhsa_group_segment_fixed_size 4096
		.amdhsa_private_segment_fixed_size 0
		.amdhsa_kernarg_size 28
		.amdhsa_user_sgpr_count 15
		.amdhsa_user_sgpr_dispatch_ptr 0
		.amdhsa_user_sgpr_queue_ptr 0
		.amdhsa_user_sgpr_kernarg_segment_ptr 1
		.amdhsa_user_sgpr_dispatch_id 0
		.amdhsa_user_sgpr_private_segment_size 0
		.amdhsa_wavefront_size32 1
		.amdhsa_uses_dynamic_stack 0
		.amdhsa_enable_private_segment 0
		.amdhsa_system_sgpr_workgroup_id_x 1
		.amdhsa_system_sgpr_workgroup_id_y 0
		.amdhsa_system_sgpr_workgroup_id_z 0
		.amdhsa_system_sgpr_workgroup_info 0
		.amdhsa_system_vgpr_workitem_id 0
		.amdhsa_next_free_vgpr 83
		.amdhsa_next_free_sgpr 16
		.amdhsa_reserve_vcc 1
		.amdhsa_float_round_mode_32 0
		.amdhsa_float_round_mode_16_64 0
		.amdhsa_float_denorm_mode_32 3
		.amdhsa_float_denorm_mode_16_64 3
		.amdhsa_dx10_clamp 1
		.amdhsa_ieee_mode 1
		.amdhsa_fp16_overflow 0
		.amdhsa_workgroup_processor_mode 1
		.amdhsa_memory_ordered 1
		.amdhsa_forward_progress 0
		.amdhsa_shared_vgpr_count 0
		.amdhsa_exception_fp_ieee_invalid_op 0
		.amdhsa_exception_fp_denorm_src 0
		.amdhsa_exception_fp_ieee_div_zero 0
		.amdhsa_exception_fp_ieee_overflow 0
		.amdhsa_exception_fp_ieee_underflow 0
		.amdhsa_exception_fp_ieee_inexact 0
		.amdhsa_exception_int_div_zero 0
	.end_amdhsa_kernel
	.section	.text._Z6kernelI27subtract_right_partial_tileLj256ELj16ELb1EJPxPiS1_jEEvDpT3_,"axG",@progbits,_Z6kernelI27subtract_right_partial_tileLj256ELj16ELb1EJPxPiS1_jEEvDpT3_,comdat
.Lfunc_end232:
	.size	_Z6kernelI27subtract_right_partial_tileLj256ELj16ELb1EJPxPiS1_jEEvDpT3_, .Lfunc_end232-_Z6kernelI27subtract_right_partial_tileLj256ELj16ELb1EJPxPiS1_jEEvDpT3_
                                        ; -- End function
	.section	.AMDGPU.csdata,"",@progbits
; Kernel info:
; codeLenInByte = 1752
; NumSgprs: 18
; NumVgprs: 83
; ScratchSize: 0
; MemoryBound: 0
; FloatMode: 240
; IeeeMode: 1
; LDSByteSize: 4096 bytes/workgroup (compile time only)
; SGPRBlocks: 2
; VGPRBlocks: 10
; NumSGPRsForWavesPerEU: 18
; NumVGPRsForWavesPerEU: 83
; Occupancy: 16
; WaveLimiterHint : 1
; COMPUTE_PGM_RSRC2:SCRATCH_EN: 0
; COMPUTE_PGM_RSRC2:USER_SGPR: 15
; COMPUTE_PGM_RSRC2:TRAP_HANDLER: 0
; COMPUTE_PGM_RSRC2:TGID_X_EN: 1
; COMPUTE_PGM_RSRC2:TGID_Y_EN: 0
; COMPUTE_PGM_RSRC2:TGID_Z_EN: 0
; COMPUTE_PGM_RSRC2:TIDIG_COMP_CNT: 0
	.section	.text._Z6kernelI27subtract_right_partial_tileLj256ELj32ELb1EJPxPiS1_jEEvDpT3_,"axG",@progbits,_Z6kernelI27subtract_right_partial_tileLj256ELj32ELb1EJPxPiS1_jEEvDpT3_,comdat
	.protected	_Z6kernelI27subtract_right_partial_tileLj256ELj32ELb1EJPxPiS1_jEEvDpT3_ ; -- Begin function _Z6kernelI27subtract_right_partial_tileLj256ELj32ELb1EJPxPiS1_jEEvDpT3_
	.globl	_Z6kernelI27subtract_right_partial_tileLj256ELj32ELb1EJPxPiS1_jEEvDpT3_
	.p2align	8
	.type	_Z6kernelI27subtract_right_partial_tileLj256ELj32ELb1EJPxPiS1_jEEvDpT3_,@function
_Z6kernelI27subtract_right_partial_tileLj256ELj32ELb1EJPxPiS1_jEEvDpT3_: ; @_Z6kernelI27subtract_right_partial_tileLj256ELj32ELb1EJPxPiS1_jEEvDpT3_
; %bb.0:
	s_clause 0x1
	s_load_b128 s[4:7], s[0:1], 0x0
	s_load_b64 s[8:9], s[0:1], 0x10
	s_mov_b32 s13, 0
	s_lshl_b32 s12, s15, 13
	v_lshlrev_b32_e32 v67, 3, v0
	s_lshl_b64 s[2:3], s[12:13], 3
	s_load_b32 s12, s[0:1], 0x18
	s_mov_b32 s10, s15
	s_delay_alu instid0(VALU_DEP_1) | instskip(SKIP_4) | instid1(VALU_DEP_1)
	v_or_b32_e32 v100, 0x800, v67
	s_waitcnt lgkmcnt(0)
	s_add_u32 s4, s4, s2
	s_addc_u32 s5, s5, s3
	v_add_co_u32 v49, s11, s4, v67
	v_add_co_ci_u32_e64 v50, null, s5, 0, s11
	v_cvt_f32_u32_e32 v65, s12
	s_delay_alu instid0(VALU_DEP_3) | instskip(NEXT) | instid1(VALU_DEP_3)
	v_add_co_u32 v3, vcc_lo, 0x1000, v49
	v_add_co_ci_u32_e32 v4, vcc_lo, 0, v50, vcc_lo
	v_add_co_u32 v5, vcc_lo, v49, 0x2000
	v_add_co_ci_u32_e32 v6, vcc_lo, 0, v50, vcc_lo
	v_add_co_u32 v7, vcc_lo, 0x2000, v49
	v_add_co_ci_u32_e32 v8, vcc_lo, 0, v50, vcc_lo
	v_add_co_u32 v9, vcc_lo, 0x3000, v49
	v_add_co_ci_u32_e32 v10, vcc_lo, 0, v50, vcc_lo
	v_add_co_u32 v11, vcc_lo, v49, 0x4000
	v_add_co_ci_u32_e32 v12, vcc_lo, 0, v50, vcc_lo
	v_add_co_u32 v15, vcc_lo, 0x4000, v49
	v_add_co_ci_u32_e32 v16, vcc_lo, 0, v50, vcc_lo
	s_clause 0x7
	global_load_b64 v[1:2], v[5:6], off offset:-4096
	global_load_b64 v[21:22], v[5:6], off
	global_load_b64 v[13:14], v[11:12], off offset:-4096
	global_load_b64 v[17:18], v[11:12], off
	global_load_b64 v[31:32], v[3:4], off offset:2048
	global_load_b64 v[29:30], v[7:8], off offset:2048
	global_load_b64 v[11:12], v[9:10], off offset:2048
	global_load_b64 v[9:10], v[15:16], off offset:2048
	v_add_co_u32 v3, vcc_lo, 0x5000, v49
	v_add_co_ci_u32_e32 v4, vcc_lo, 0, v50, vcc_lo
	v_add_co_u32 v5, vcc_lo, v49, 0x6000
	v_add_co_ci_u32_e32 v6, vcc_lo, 0, v50, vcc_lo
	v_add_co_u32 v23, vcc_lo, 0x6000, v49
	v_add_co_ci_u32_e32 v24, vcc_lo, 0, v50, vcc_lo
	v_add_co_u32 v33, vcc_lo, 0x7000, v49
	v_add_co_ci_u32_e32 v34, vcc_lo, 0, v50, vcc_lo
	v_add_co_u32 v15, vcc_lo, v49, 0x8000
	v_add_co_ci_u32_e32 v16, vcc_lo, 0, v50, vcc_lo
	v_add_co_u32 v35, vcc_lo, 0x8000, v49
	v_add_co_ci_u32_e32 v36, vcc_lo, 0, v50, vcc_lo
	s_clause 0x7
	global_load_b64 v[27:28], v[5:6], off offset:-4096
	global_load_b64 v[19:20], v[5:6], off
	global_load_b64 v[7:8], v[15:16], off offset:-4096
	global_load_b64 v[15:16], v[15:16], off
	global_load_b64 v[25:26], v[3:4], off offset:2048
	global_load_b64 v[23:24], v[23:24], off offset:2048
	global_load_b64 v[5:6], v[33:34], off offset:2048
	global_load_b64 v[3:4], v[35:36], off offset:2048
	;; [unrolled: 21-line block ×3, first 2 shown]
	v_add_co_u32 v41, vcc_lo, 0xd000, v49
	v_add_co_ci_u32_e32 v42, vcc_lo, 0, v50, vcc_lo
	v_add_co_u32 v43, vcc_lo, v49, 0xe000
	v_add_co_ci_u32_e32 v44, vcc_lo, 0, v50, vcc_lo
	v_add_co_u32 v47, vcc_lo, 0xe000, v49
	v_add_co_ci_u32_e32 v48, vcc_lo, 0, v50, vcc_lo
	v_add_co_u32 v61, vcc_lo, 0xf000, v49
	v_add_co_ci_u32_e32 v62, vcc_lo, 0, v50, vcc_lo
	s_clause 0x7
	global_load_b64 v[51:52], v[43:44], off offset:-4096
	global_load_b64 v[45:46], v[43:44], off
	global_load_b64 v[49:50], v[41:42], off offset:2048
	global_load_b64 v[47:48], v[47:48], off offset:2048
	global_load_b64 v[43:44], v[61:62], off
	global_load_b64 v[41:42], v[61:62], off offset:2048
	global_load_b64 v[63:64], v67, s[4:5]
	global_load_b64 v[61:62], v67, s[4:5] offset:2048
	v_rcp_iflag_f32_e32 v65, v65
	s_mov_b32 s11, s13
	s_delay_alu instid0(SALU_CYCLE_1) | instskip(NEXT) | instid1(SALU_CYCLE_1)
	s_lshl_b64 s[0:1], s[10:11], 2
	s_add_u32 s0, s6, s0
	s_addc_u32 s1, s7, s1
	s_sub_i32 s5, 0, s12
	s_waitcnt_depctr 0xfff
	v_mul_f32_e32 v65, 0x4f7ffffe, v65
	s_delay_alu instid0(VALU_DEP_1) | instskip(NEXT) | instid1(VALU_DEP_1)
	v_cvt_u32_f32_e32 v65, v65
	v_readfirstlane_b32 s4, v65
	v_lshlrev_b32_e32 v65, 5, v0
	s_delay_alu instid0(VALU_DEP_2) | instskip(NEXT) | instid1(VALU_DEP_1)
	s_mul_i32 s5, s5, s4
	v_or_b32_e32 v68, 1, v65
	s_mul_hi_u32 s5, s4, s5
	v_or_b32_e32 v69, 2, v65
	s_add_i32 s4, s4, s5
	v_or_b32_e32 v70, 3, v65
	s_lshr_b32 s4, s4, 19
	v_or_b32_e32 v71, 4, v65
	s_mul_i32 s5, s4, s12
	s_add_i32 s6, s4, 1
	s_sub_i32 s5, 0x2000, s5
	v_or_b32_e32 v72, 5, v65
	s_sub_i32 s7, s5, s12
	s_cmp_ge_u32 s5, s12
	v_or_b32_e32 v73, 6, v65
	s_cselect_b32 s4, s6, s4
	s_cselect_b32 s5, s7, s5
	s_add_i32 s6, s4, 1
	s_cmp_ge_u32 s5, s12
	v_or_b32_e32 v74, 7, v65
	s_cselect_b32 s5, s6, s4
	s_load_b32 s4, s[0:1], 0x0
	v_or_b32_e32 v75, 8, v65
	v_or_b32_e32 v76, 9, v65
	;; [unrolled: 1-line block ×24, first 2 shown]
	v_add_nc_u32_e32 v99, 32, v65
	s_add_i32 s5, s5, 1
	s_max_u32 s6, s12, 1
	s_branch .LBB233_2
.LBB233_1:                              ;   in Loop: Header=BB233_2 Depth=1
	s_or_b32 exec_lo, exec_lo, s0
	v_cmp_gt_u32_e32 vcc_lo, s4, v68
	v_cmp_gt_u32_e64 s0, s4, v69
	v_cmp_gt_u32_e64 s1, s4, v70
	s_add_i32 s6, s6, -1
	v_cndmask_b32_e32 v103, 0, v61, vcc_lo
	v_cndmask_b32_e32 v101, 0, v62, vcc_lo
	v_cndmask_b32_e64 v105, 0, v1, s0
	v_cndmask_b32_e64 v102, 0, v2, s0
	v_cmp_gt_u32_e64 s0, s4, v72
	v_sub_co_u32 v103, vcc_lo, v63, v103
	v_sub_co_ci_u32_e32 v101, vcc_lo, v64, v101, vcc_lo
	v_sub_co_u32 v105, vcc_lo, v61, v105
	v_sub_co_ci_u32_e32 v102, vcc_lo, v62, v102, vcc_lo
	v_cmp_gt_u32_e32 vcc_lo, s4, v71
	v_cndmask_b32_e64 v110, 0, v29, s0
	v_cndmask_b32_e64 v109, 0, v30, s0
	;; [unrolled: 1-line block ×4, first 2 shown]
	v_dual_cndmask_b32 v108, 0, v21 :: v_dual_cndmask_b32 v107, 0, v22
	v_cmp_gt_u32_e32 vcc_lo, s4, v73
	s_delay_alu instid0(VALU_DEP_4) | instskip(NEXT) | instid1(VALU_DEP_3)
	v_sub_co_u32 v106, s1, v1, v106
	v_sub_co_u32 v108, s0, v31, v108
	v_dual_cndmask_b32 v112, 0, v13 :: v_dual_cndmask_b32 v111, 0, v14
	v_sub_co_u32 v110, vcc_lo, v21, v110
	v_sub_co_ci_u32_e32 v109, vcc_lo, v22, v109, vcc_lo
	s_delay_alu instid0(VALU_DEP_3) | instskip(NEXT) | instid1(VALU_DEP_4)
	v_sub_co_u32 v112, vcc_lo, v29, v112
	v_sub_co_ci_u32_e32 v111, vcc_lo, v30, v111, vcc_lo
	v_cmp_gt_u32_e32 vcc_lo, s4, v74
	v_sub_co_ci_u32_e64 v107, s0, v32, v107, s0
	v_add_co_u32 v63, s0, v103, v63
	v_cndmask_b32_e32 v113, 0, v12, vcc_lo
	v_add_co_ci_u32_e64 v64, s0, v101, v64, s0
	v_cndmask_b32_e32 v101, 0, v11, vcc_lo
	v_cmp_gt_u32_e32 vcc_lo, s4, v75
	v_add_co_u32 v61, s0, v105, v61
	s_delay_alu instid0(VALU_DEP_1)
	v_add_co_ci_u32_e64 v62, s0, v102, v62, s0
	v_dual_cndmask_b32 v103, 0, v18 :: v_dual_cndmask_b32 v102, 0, v17
	v_sub_co_u32 v101, vcc_lo, v13, v101
	v_sub_co_ci_u32_e32 v105, vcc_lo, v14, v113, vcc_lo
	v_sub_co_ci_u32_e64 v104, s1, v2, v104, s1
	v_cmp_gt_u32_e32 vcc_lo, s4, v76
	v_add_co_u32 v1, s0, v106, v1
	s_delay_alu instid0(VALU_DEP_1) | instskip(SKIP_3) | instid1(VALU_DEP_3)
	v_add_co_ci_u32_e64 v2, s0, v104, v2, s0
	v_dual_cndmask_b32 v104, 0, v9 :: v_dual_cndmask_b32 v113, 0, v10
	v_sub_co_u32 v102, vcc_lo, v11, v102
	v_sub_co_ci_u32_e32 v103, vcc_lo, v12, v103, vcc_lo
	v_sub_co_u32 v104, vcc_lo, v17, v104
	s_delay_alu instid0(VALU_DEP_4) | instskip(SKIP_2) | instid1(VALU_DEP_1)
	v_sub_co_ci_u32_e32 v106, vcc_lo, v18, v113, vcc_lo
	v_cmp_gt_u32_e32 vcc_lo, s4, v77
	v_add_co_u32 v31, s0, v108, v31
	v_add_co_ci_u32_e64 v32, s0, v107, v32, s0
	v_cndmask_b32_e32 v113, 0, v28, vcc_lo
	v_cndmask_b32_e32 v107, 0, v27, vcc_lo
	v_cmp_gt_u32_e32 vcc_lo, s4, v78
	v_add_co_u32 v21, s0, v110, v21
	s_delay_alu instid0(VALU_DEP_1) | instskip(SKIP_3) | instid1(VALU_DEP_3)
	v_add_co_ci_u32_e64 v22, s0, v109, v22, s0
	v_dual_cndmask_b32 v109, 0, v25 :: v_dual_cndmask_b32 v108, 0, v26
	v_sub_co_u32 v107, vcc_lo, v9, v107
	v_sub_co_ci_u32_e32 v110, vcc_lo, v10, v113, vcc_lo
	v_sub_co_u32 v109, vcc_lo, v27, v109
	s_delay_alu instid0(VALU_DEP_4) | instskip(SKIP_2) | instid1(VALU_DEP_1)
	v_sub_co_ci_u32_e32 v108, vcc_lo, v28, v108, vcc_lo
	v_cmp_gt_u32_e32 vcc_lo, s4, v79
	v_add_co_u32 v29, s0, v112, v29
	v_add_co_ci_u32_e64 v30, s0, v111, v30, s0
	v_cndmask_b32_e32 v113, 0, v20, vcc_lo
	v_cndmask_b32_e32 v111, 0, v19, vcc_lo
	v_cmp_gt_u32_e32 vcc_lo, s4, v80
	v_add_co_u32 v13, s0, v101, v13
	s_delay_alu instid0(VALU_DEP_1) | instskip(SKIP_3) | instid1(VALU_DEP_3)
	v_add_co_ci_u32_e64 v14, s0, v105, v14, s0
	v_dual_cndmask_b32 v101, 0, v23 :: v_dual_cndmask_b32 v112, 0, v24
	v_sub_co_u32 v105, vcc_lo, v25, v111
	v_sub_co_ci_u32_e32 v111, vcc_lo, v26, v113, vcc_lo
	v_sub_co_u32 v101, vcc_lo, v19, v101
	s_delay_alu instid0(VALU_DEP_4) | instskip(SKIP_2) | instid1(VALU_DEP_1)
	v_sub_co_ci_u32_e32 v112, vcc_lo, v20, v112, vcc_lo
	v_cmp_gt_u32_e32 vcc_lo, s4, v81
	v_add_co_u32 v11, s0, v102, v11
	v_add_co_ci_u32_e64 v12, s0, v103, v12, s0
	v_dual_cndmask_b32 v113, 0, v8 :: v_dual_cndmask_b32 v102, 0, v7
	v_cmp_gt_u32_e32 vcc_lo, s4, v82
	v_add_co_u32 v17, s0, v104, v17
	s_delay_alu instid0(VALU_DEP_1) | instskip(SKIP_3) | instid1(VALU_DEP_3)
	v_add_co_ci_u32_e64 v18, s0, v106, v18, s0
	v_dual_cndmask_b32 v104, 0, v5 :: v_dual_cndmask_b32 v103, 0, v6
	v_sub_co_u32 v102, vcc_lo, v23, v102
	v_sub_co_ci_u32_e32 v106, vcc_lo, v24, v113, vcc_lo
	v_sub_co_u32 v104, vcc_lo, v7, v104
	s_delay_alu instid0(VALU_DEP_4) | instskip(SKIP_2) | instid1(VALU_DEP_1)
	v_sub_co_ci_u32_e32 v103, vcc_lo, v8, v103, vcc_lo
	v_cmp_gt_u32_e32 vcc_lo, s4, v83
	v_add_co_u32 v9, s0, v107, v9
	v_add_co_ci_u32_e64 v10, s0, v110, v10, s0
	v_cndmask_b32_e32 v113, 0, v16, vcc_lo
	v_cndmask_b32_e32 v107, 0, v15, vcc_lo
	v_cmp_gt_u32_e32 vcc_lo, s4, v84
	v_add_co_u32 v27, s0, v109, v27
	s_delay_alu instid0(VALU_DEP_1) | instskip(SKIP_4) | instid1(VALU_DEP_4)
	v_add_co_ci_u32_e64 v28, s0, v108, v28, s0
	v_cndmask_b32_e32 v108, 0, v3, vcc_lo
	v_cndmask_b32_e32 v110, 0, v4, vcc_lo
	v_sub_co_u32 v107, vcc_lo, v5, v107
	v_sub_co_ci_u32_e32 v109, vcc_lo, v6, v113, vcc_lo
	v_sub_co_u32 v108, vcc_lo, v15, v108
	s_delay_alu instid0(VALU_DEP_4) | instskip(SKIP_2) | instid1(VALU_DEP_1)
	v_sub_co_ci_u32_e32 v110, vcc_lo, v16, v110, vcc_lo
	v_cmp_gt_u32_e32 vcc_lo, s4, v85
	v_add_co_u32 v25, s0, v105, v25
	v_add_co_ci_u32_e64 v26, s0, v111, v26, s0
	v_cndmask_b32_e32 v113, 0, v60, vcc_lo
	v_cndmask_b32_e32 v105, 0, v59, vcc_lo
	v_cmp_gt_u32_e32 vcc_lo, s4, v86
	v_add_co_u32 v19, s0, v101, v19
	s_delay_alu instid0(VALU_DEP_1) | instskip(SKIP_4) | instid1(VALU_DEP_4)
	v_add_co_ci_u32_e64 v20, s0, v112, v20, s0
	v_cndmask_b32_e32 v101, 0, v57, vcc_lo
	v_cndmask_b32_e32 v111, 0, v58, vcc_lo
	v_sub_co_u32 v105, vcc_lo, v3, v105
	v_sub_co_ci_u32_e32 v112, vcc_lo, v4, v113, vcc_lo
	v_sub_co_u32 v101, vcc_lo, v59, v101
	s_delay_alu instid0(VALU_DEP_4) | instskip(SKIP_2) | instid1(VALU_DEP_1)
	v_sub_co_ci_u32_e32 v111, vcc_lo, v60, v111, vcc_lo
	v_cmp_gt_u32_e32 vcc_lo, s4, v87
	v_add_co_u32 v23, s0, v102, v23
	v_add_co_ci_u32_e64 v24, s0, v106, v24, s0
	v_dual_cndmask_b32 v113, 0, v54 :: v_dual_cndmask_b32 v102, 0, v53
	v_cmp_gt_u32_e32 vcc_lo, s4, v88
	v_add_co_u32 v7, s0, v104, v7
	s_delay_alu instid0(VALU_DEP_1) | instskip(SKIP_3) | instid1(VALU_DEP_3)
	v_add_co_ci_u32_e64 v8, s0, v103, v8, s0
	v_dual_cndmask_b32 v103, 0, v55 :: v_dual_cndmask_b32 v106, 0, v56
	v_sub_co_u32 v102, vcc_lo, v57, v102
	v_sub_co_ci_u32_e32 v104, vcc_lo, v58, v113, vcc_lo
	v_sub_co_u32 v103, vcc_lo, v53, v103
	s_delay_alu instid0(VALU_DEP_4) | instskip(SKIP_2) | instid1(VALU_DEP_1)
	v_sub_co_ci_u32_e32 v106, vcc_lo, v54, v106, vcc_lo
	v_cmp_gt_u32_e32 vcc_lo, s4, v89
	v_add_co_u32 v5, s0, v107, v5
	v_add_co_ci_u32_e64 v6, s0, v109, v6, s0
	v_cndmask_b32_e32 v113, 0, v40, vcc_lo
	v_cndmask_b32_e32 v107, 0, v39, vcc_lo
	v_cmp_gt_u32_e32 vcc_lo, s4, v90
	v_add_co_u32 v15, s0, v108, v15
	s_delay_alu instid0(VALU_DEP_1) | instskip(SKIP_3) | instid1(VALU_DEP_3)
	v_add_co_ci_u32_e64 v16, s0, v110, v16, s0
	v_dual_cndmask_b32 v108, 0, v35 :: v_dual_cndmask_b32 v109, 0, v36
	v_sub_co_u32 v107, vcc_lo, v55, v107
	v_sub_co_ci_u32_e32 v110, vcc_lo, v56, v113, vcc_lo
	v_sub_co_u32 v108, vcc_lo, v39, v108
	s_delay_alu instid0(VALU_DEP_4) | instskip(SKIP_2) | instid1(VALU_DEP_1)
	v_sub_co_ci_u32_e32 v109, vcc_lo, v40, v109, vcc_lo
	v_cmp_gt_u32_e32 vcc_lo, s4, v91
	v_add_co_u32 v3, s0, v105, v3
	v_add_co_ci_u32_e64 v4, s0, v112, v4, s0
	v_cndmask_b32_e32 v113, 0, v38, vcc_lo
	v_cndmask_b32_e32 v105, 0, v37, vcc_lo
	v_cmp_gt_u32_e32 vcc_lo, s4, v92
	v_add_co_u32 v59, s0, v101, v59
	s_delay_alu instid0(VALU_DEP_1) | instskip(SKIP_3) | instid1(VALU_DEP_3)
	v_add_co_ci_u32_e64 v60, s0, v111, v60, s0
	v_dual_cndmask_b32 v101, 0, v33 :: v_dual_cndmask_b32 v112, 0, v34
	v_sub_co_u32 v105, vcc_lo, v35, v105
	v_sub_co_ci_u32_e32 v111, vcc_lo, v36, v113, vcc_lo
	v_sub_co_u32 v101, vcc_lo, v37, v101
	s_delay_alu instid0(VALU_DEP_4) | instskip(SKIP_2) | instid1(VALU_DEP_1)
	v_sub_co_ci_u32_e32 v112, vcc_lo, v38, v112, vcc_lo
	v_cmp_gt_u32_e32 vcc_lo, s4, v93
	v_add_co_u32 v57, s0, v102, v57
	v_add_co_ci_u32_e64 v58, s0, v104, v58, s0
	v_dual_cndmask_b32 v113, 0, v52 :: v_dual_cndmask_b32 v102, 0, v51
	v_cmp_gt_u32_e32 vcc_lo, s4, v94
	v_add_co_u32 v53, s0, v103, v53
	s_delay_alu instid0(VALU_DEP_1) | instskip(SKIP_3) | instid1(VALU_DEP_3)
	v_add_co_ci_u32_e64 v54, s0, v106, v54, s0
	v_dual_cndmask_b32 v103, 0, v49 :: v_dual_cndmask_b32 v104, 0, v50
	v_sub_co_u32 v102, vcc_lo, v33, v102
	v_sub_co_ci_u32_e32 v106, vcc_lo, v34, v113, vcc_lo
	v_sub_co_u32 v103, vcc_lo, v51, v103
	s_delay_alu instid0(VALU_DEP_4) | instskip(SKIP_2) | instid1(VALU_DEP_1)
	v_sub_co_ci_u32_e32 v104, vcc_lo, v52, v104, vcc_lo
	v_cmp_gt_u32_e32 vcc_lo, s4, v95
	v_add_co_u32 v55, s0, v107, v55
	v_add_co_ci_u32_e64 v56, s0, v110, v56, s0
	v_cndmask_b32_e32 v113, 0, v46, vcc_lo
	v_cndmask_b32_e32 v107, 0, v45, vcc_lo
	v_cmp_gt_u32_e32 vcc_lo, s4, v96
	v_add_co_u32 v39, s0, v108, v39
	s_delay_alu instid0(VALU_DEP_1) | instskip(SKIP_4) | instid1(VALU_DEP_3)
	v_add_co_ci_u32_e64 v40, s0, v109, v40, s0
	v_cndmask_b32_e32 v110, 0, v48, vcc_lo
	v_cndmask_b32_e32 v108, 0, v47, vcc_lo
	v_sub_co_u32 v107, vcc_lo, v49, v107
	v_sub_co_ci_u32_e32 v109, vcc_lo, v50, v113, vcc_lo
	v_sub_co_u32 v108, vcc_lo, v45, v108
	v_sub_co_ci_u32_e32 v110, vcc_lo, v46, v110, vcc_lo
	v_cmp_gt_u32_e32 vcc_lo, s4, v97
	v_add_co_u32 v35, s0, v105, v35
	s_delay_alu instid0(VALU_DEP_1) | instskip(SKIP_4) | instid1(VALU_DEP_1)
	v_add_co_ci_u32_e64 v36, s0, v111, v36, s0
	v_cndmask_b32_e32 v113, 0, v44, vcc_lo
	v_cndmask_b32_e32 v105, 0, v43, vcc_lo
	v_cmp_gt_u32_e32 vcc_lo, s4, v98
	v_add_co_u32 v37, s0, v101, v37
	v_add_co_ci_u32_e64 v38, s0, v112, v38, s0
	v_cndmask_b32_e32 v101, 0, v41, vcc_lo
	v_cndmask_b32_e32 v111, 0, v42, vcc_lo
	v_sub_co_u32 v105, vcc_lo, v47, v105
	v_sub_co_ci_u32_e32 v112, vcc_lo, v48, v113, vcc_lo
	s_delay_alu instid0(VALU_DEP_4) | instskip(NEXT) | instid1(VALU_DEP_4)
	v_sub_co_u32 v101, vcc_lo, v43, v101
	v_sub_co_ci_u32_e32 v111, vcc_lo, v44, v111, vcc_lo
	v_add_co_u32 v33, vcc_lo, v102, v33
	v_add_co_ci_u32_e32 v34, vcc_lo, v106, v34, vcc_lo
	v_add_co_u32 v51, vcc_lo, v103, v51
	v_add_co_ci_u32_e32 v52, vcc_lo, v104, v52, vcc_lo
	;; [unrolled: 2-line block ×6, first 2 shown]
	v_add_co_u32 v41, vcc_lo, v65, v41
	s_add_i32 s0, s5, s4
	v_add_co_ci_u32_e32 v42, vcc_lo, v66, v42, vcc_lo
	s_and_b32 s4, s0, 0x1fff
	s_cmp_lg_u32 s6, 0
	s_barrier
	buffer_gl0_inv
	s_cbranch_scc0 .LBB233_4
.LBB233_2:                              ; =>This Inner Loop Header: Depth=1
	s_waitcnt vmcnt(2)
	v_dual_mov_b32 v66, v42 :: v_dual_mov_b32 v65, v41
	s_mov_b32 s0, exec_lo
	s_waitcnt vmcnt(1)
	ds_store_b64 v67, v[63:64] offset:2048
	s_waitcnt vmcnt(0) lgkmcnt(0)
	s_barrier
	buffer_gl0_inv
	v_cmpx_gt_u32_e64 s4, v99
	s_cbranch_execz .LBB233_1
; %bb.3:                                ;   in Loop: Header=BB233_2 Depth=1
	ds_load_b64 v[65:66], v100 offset:8
	s_waitcnt lgkmcnt(0)
	v_sub_co_u32 v65, vcc_lo, v41, v65
	v_sub_co_ci_u32_e32 v66, vcc_lo, v42, v66, vcc_lo
	s_branch .LBB233_1
.LBB233_4:
	v_lshlrev_b32_e32 v0, 3, v0
	s_add_u32 s0, s8, s2
	s_addc_u32 s1, s9, s3
	s_delay_alu instid0(VALU_DEP_1) | instskip(NEXT) | instid1(VALU_DEP_1)
	v_add_co_u32 v71, s2, s0, v0
	v_add_co_ci_u32_e64 v72, null, s1, 0, s2
	s_delay_alu instid0(VALU_DEP_2) | instskip(NEXT) | instid1(VALU_DEP_2)
	v_add_co_u32 v65, vcc_lo, 0x1000, v71
	v_add_co_ci_u32_e32 v66, vcc_lo, 0, v72, vcc_lo
	v_add_co_u32 v67, vcc_lo, v71, 0x2000
	v_add_co_ci_u32_e32 v68, vcc_lo, 0, v72, vcc_lo
	v_add_co_u32 v69, vcc_lo, 0x2000, v71
	v_add_co_ci_u32_e32 v70, vcc_lo, 0, v72, vcc_lo
	s_clause 0x4
	global_store_b64 v[67:68], v[21:22], off
	global_store_b64 v0, v[63:64], s[0:1]
	global_store_b64 v0, v[61:62], s[0:1] offset:2048
	global_store_b64 v[65:66], v[31:32], off offset:2048
	global_store_b64 v[69:70], v[29:30], off offset:2048
	v_add_co_u32 v21, vcc_lo, 0x3000, v71
	v_add_co_ci_u32_e32 v22, vcc_lo, 0, v72, vcc_lo
	v_add_co_u32 v29, vcc_lo, v71, 0x4000
	v_add_co_ci_u32_e32 v30, vcc_lo, 0, v72, vcc_lo
	;; [unrolled: 2-line block ×6, first 2 shown]
	s_clause 0x7
	global_store_b64 v[29:30], v[13:14], off offset:-4096
	global_store_b64 v[29:30], v[17:18], off
	global_store_b64 v[63:64], v[27:28], off offset:-4096
	global_store_b64 v[63:64], v[19:20], off
	global_store_b64 v[21:22], v[11:12], off offset:2048
	global_store_b64 v[31:32], v[9:10], off offset:2048
	global_store_b64 v[61:62], v[25:26], off offset:2048
	global_store_b64 v[65:66], v[23:24], off offset:2048
	v_add_co_u32 v9, vcc_lo, 0x7000, v71
	v_add_co_ci_u32_e32 v10, vcc_lo, 0, v72, vcc_lo
	v_add_co_u32 v11, vcc_lo, v71, 0x8000
	v_add_co_ci_u32_e32 v12, vcc_lo, 0, v72, vcc_lo
	;; [unrolled: 2-line block ×6, first 2 shown]
	s_clause 0x7
	global_store_b64 v[11:12], v[7:8], off offset:-4096
	global_store_b64 v[11:12], v[15:16], off
	global_store_b64 v[19:20], v[59:60], off offset:-4096
	global_store_b64 v[19:20], v[53:54], off
	global_store_b64 v[9:10], v[5:6], off offset:2048
	global_store_b64 v[13:14], v[3:4], off offset:2048
	;; [unrolled: 1-line block ×4, first 2 shown]
	v_add_co_u32 v3, vcc_lo, 0xb000, v71
	v_add_co_ci_u32_e32 v4, vcc_lo, 0, v72, vcc_lo
	v_add_co_u32 v5, vcc_lo, v71, 0xc000
	v_add_co_ci_u32_e32 v6, vcc_lo, 0, v72, vcc_lo
	;; [unrolled: 2-line block ×6, first 2 shown]
	s_clause 0x3
	global_store_b64 v[5:6], v[39:40], off offset:-4096
	global_store_b64 v[5:6], v[37:38], off
	global_store_b64 v[11:12], v[51:52], off offset:-4096
	global_store_b64 v[11:12], v[45:46], off
	v_add_co_u32 v5, vcc_lo, 0xf000, v71
	v_add_co_ci_u32_e32 v6, vcc_lo, 0, v72, vcc_lo
	s_clause 0x6
	global_store_b64 v[3:4], v[35:36], off offset:2048
	global_store_b64 v[7:8], v[33:34], off offset:2048
	;; [unrolled: 1-line block ×4, first 2 shown]
	global_store_b64 v[5:6], v[43:44], off
	global_store_b64 v[67:68], v[1:2], off offset:-4096
	global_store_b64 v[5:6], v[41:42], off offset:2048
	s_nop 0
	s_sendmsg sendmsg(MSG_DEALLOC_VGPRS)
	s_endpgm
	.section	.rodata,"a",@progbits
	.p2align	6, 0x0
	.amdhsa_kernel _Z6kernelI27subtract_right_partial_tileLj256ELj32ELb1EJPxPiS1_jEEvDpT3_
		.amdhsa_group_segment_fixed_size 4096
		.amdhsa_private_segment_fixed_size 0
		.amdhsa_kernarg_size 28
		.amdhsa_user_sgpr_count 15
		.amdhsa_user_sgpr_dispatch_ptr 0
		.amdhsa_user_sgpr_queue_ptr 0
		.amdhsa_user_sgpr_kernarg_segment_ptr 1
		.amdhsa_user_sgpr_dispatch_id 0
		.amdhsa_user_sgpr_private_segment_size 0
		.amdhsa_wavefront_size32 1
		.amdhsa_uses_dynamic_stack 0
		.amdhsa_enable_private_segment 0
		.amdhsa_system_sgpr_workgroup_id_x 1
		.amdhsa_system_sgpr_workgroup_id_y 0
		.amdhsa_system_sgpr_workgroup_id_z 0
		.amdhsa_system_sgpr_workgroup_info 0
		.amdhsa_system_vgpr_workitem_id 0
		.amdhsa_next_free_vgpr 114
		.amdhsa_next_free_sgpr 16
		.amdhsa_reserve_vcc 1
		.amdhsa_float_round_mode_32 0
		.amdhsa_float_round_mode_16_64 0
		.amdhsa_float_denorm_mode_32 3
		.amdhsa_float_denorm_mode_16_64 3
		.amdhsa_dx10_clamp 1
		.amdhsa_ieee_mode 1
		.amdhsa_fp16_overflow 0
		.amdhsa_workgroup_processor_mode 1
		.amdhsa_memory_ordered 1
		.amdhsa_forward_progress 0
		.amdhsa_shared_vgpr_count 0
		.amdhsa_exception_fp_ieee_invalid_op 0
		.amdhsa_exception_fp_denorm_src 0
		.amdhsa_exception_fp_ieee_div_zero 0
		.amdhsa_exception_fp_ieee_overflow 0
		.amdhsa_exception_fp_ieee_underflow 0
		.amdhsa_exception_fp_ieee_inexact 0
		.amdhsa_exception_int_div_zero 0
	.end_amdhsa_kernel
	.section	.text._Z6kernelI27subtract_right_partial_tileLj256ELj32ELb1EJPxPiS1_jEEvDpT3_,"axG",@progbits,_Z6kernelI27subtract_right_partial_tileLj256ELj32ELb1EJPxPiS1_jEEvDpT3_,comdat
.Lfunc_end233:
	.size	_Z6kernelI27subtract_right_partial_tileLj256ELj32ELb1EJPxPiS1_jEEvDpT3_, .Lfunc_end233-_Z6kernelI27subtract_right_partial_tileLj256ELj32ELb1EJPxPiS1_jEEvDpT3_
                                        ; -- End function
	.section	.AMDGPU.csdata,"",@progbits
; Kernel info:
; codeLenInByte = 3164
; NumSgprs: 18
; NumVgprs: 114
; ScratchSize: 0
; MemoryBound: 0
; FloatMode: 240
; IeeeMode: 1
; LDSByteSize: 4096 bytes/workgroup (compile time only)
; SGPRBlocks: 2
; VGPRBlocks: 14
; NumSGPRsForWavesPerEU: 18
; NumVGPRsForWavesPerEU: 114
; Occupancy: 12
; WaveLimiterHint : 1
; COMPUTE_PGM_RSRC2:SCRATCH_EN: 0
; COMPUTE_PGM_RSRC2:USER_SGPR: 15
; COMPUTE_PGM_RSRC2:TRAP_HANDLER: 0
; COMPUTE_PGM_RSRC2:TGID_X_EN: 1
; COMPUTE_PGM_RSRC2:TGID_Y_EN: 0
; COMPUTE_PGM_RSRC2:TGID_Z_EN: 0
; COMPUTE_PGM_RSRC2:TIDIG_COMP_CNT: 0
	.section	.text._Z6kernelI27subtract_right_partial_tileLj256ELj1ELb1EJPdPiS1_jEEvDpT3_,"axG",@progbits,_Z6kernelI27subtract_right_partial_tileLj256ELj1ELb1EJPdPiS1_jEEvDpT3_,comdat
	.protected	_Z6kernelI27subtract_right_partial_tileLj256ELj1ELb1EJPdPiS1_jEEvDpT3_ ; -- Begin function _Z6kernelI27subtract_right_partial_tileLj256ELj1ELb1EJPdPiS1_jEEvDpT3_
	.globl	_Z6kernelI27subtract_right_partial_tileLj256ELj1ELb1EJPdPiS1_jEEvDpT3_
	.p2align	8
	.type	_Z6kernelI27subtract_right_partial_tileLj256ELj1ELb1EJPdPiS1_jEEvDpT3_,@function
_Z6kernelI27subtract_right_partial_tileLj256ELj1ELb1EJPdPiS1_jEEvDpT3_: ; @_Z6kernelI27subtract_right_partial_tileLj256ELj1ELb1EJPdPiS1_jEEvDpT3_
; %bb.0:
	s_clause 0x1
	s_load_b128 s[8:11], s[0:1], 0x0
	s_load_b64 s[4:5], s[0:1], 0x10
	s_lshl_b32 s12, s15, 8
	s_mov_b32 s13, 0
	v_lshlrev_b32_e32 v5, 3, v0
	s_lshl_b64 s[2:3], s[12:13], 3
	s_mov_b32 s6, s15
	s_mov_b32 s7, s13
	v_add_nc_u32_e32 v6, 1, v0
	v_or_b32_e32 v7, 0x800, v5
	s_waitcnt lgkmcnt(0)
	s_add_u32 s8, s8, s2
	s_addc_u32 s9, s9, s3
	global_load_b64 v[1:2], v5, s[8:9]
	s_load_b32 s8, s[0:1], 0x18
	s_lshl_b64 s[0:1], s[6:7], 2
	s_delay_alu instid0(SALU_CYCLE_1)
	s_add_u32 s0, s10, s0
	s_addc_u32 s1, s11, s1
	s_load_b32 s0, s[0:1], 0x0
	s_waitcnt lgkmcnt(0)
	v_cvt_f32_u32_e32 v3, s8
	s_sub_i32 s7, 0, s8
	s_delay_alu instid0(VALU_DEP_1) | instskip(SKIP_2) | instid1(VALU_DEP_1)
	v_rcp_iflag_f32_e32 v3, v3
	s_waitcnt_depctr 0xfff
	v_mul_f32_e32 v3, 0x4f7ffffe, v3
	v_cvt_u32_f32_e32 v3, v3
	s_delay_alu instid0(VALU_DEP_1) | instskip(NEXT) | instid1(VALU_DEP_1)
	v_readfirstlane_b32 s6, v3
	s_mul_i32 s7, s7, s6
	s_delay_alu instid0(SALU_CYCLE_1) | instskip(NEXT) | instid1(SALU_CYCLE_1)
	s_mul_hi_u32 s7, s6, s7
	s_add_i32 s6, s6, s7
	s_delay_alu instid0(SALU_CYCLE_1) | instskip(NEXT) | instid1(SALU_CYCLE_1)
	s_lshr_b32 s6, s6, 24
	s_mul_i32 s1, s6, s8
	s_add_i32 s7, s6, 1
	s_sub_i32 s1, 0x100, s1
	s_delay_alu instid0(SALU_CYCLE_1)
	s_sub_i32 s9, s1, s8
	s_cmp_ge_u32 s1, s8
	s_cselect_b32 s6, s7, s6
	s_cselect_b32 s1, s9, s1
	s_add_i32 s7, s6, 1
	s_cmp_ge_u32 s1, s8
	s_cselect_b32 s1, s7, s6
	s_max_u32 s6, s8, 1
	s_add_i32 s1, s1, 1
	s_branch .LBB234_2
	.p2align	6
.LBB234_1:                              ;   in Loop: Header=BB234_2 Depth=1
	s_or_b32 exec_lo, exec_lo, s7
	s_delay_alu instid0(VALU_DEP_1)
	v_add_f64 v[1:2], v[1:2], v[3:4]
	s_add_i32 s0, s1, s0
	s_add_i32 s6, s6, -1
	s_and_b32 s0, s0, 0xff
	s_cmp_lg_u32 s6, 0
	s_barrier
	buffer_gl0_inv
	s_cbranch_scc0 .LBB234_4
.LBB234_2:                              ; =>This Inner Loop Header: Depth=1
	s_waitcnt vmcnt(0)
	v_dual_mov_b32 v4, v2 :: v_dual_mov_b32 v3, v1
	s_mov_b32 s7, exec_lo
	ds_store_b64 v5, v[1:2] offset:2048
	s_waitcnt lgkmcnt(0)
	s_barrier
	buffer_gl0_inv
	v_cmpx_gt_u32_e64 s0, v6
	s_cbranch_execz .LBB234_1
; %bb.3:                                ;   in Loop: Header=BB234_2 Depth=1
	ds_load_b64 v[3:4], v7 offset:8
	s_waitcnt lgkmcnt(0)
	v_add_f64 v[3:4], v[1:2], -v[3:4]
	s_branch .LBB234_1
.LBB234_4:
	v_lshlrev_b32_e32 v0, 3, v0
	s_add_u32 s0, s4, s2
	s_addc_u32 s1, s5, s3
	global_store_b64 v0, v[1:2], s[0:1]
	s_nop 0
	s_sendmsg sendmsg(MSG_DEALLOC_VGPRS)
	s_endpgm
	.section	.rodata,"a",@progbits
	.p2align	6, 0x0
	.amdhsa_kernel _Z6kernelI27subtract_right_partial_tileLj256ELj1ELb1EJPdPiS1_jEEvDpT3_
		.amdhsa_group_segment_fixed_size 4096
		.amdhsa_private_segment_fixed_size 0
		.amdhsa_kernarg_size 28
		.amdhsa_user_sgpr_count 15
		.amdhsa_user_sgpr_dispatch_ptr 0
		.amdhsa_user_sgpr_queue_ptr 0
		.amdhsa_user_sgpr_kernarg_segment_ptr 1
		.amdhsa_user_sgpr_dispatch_id 0
		.amdhsa_user_sgpr_private_segment_size 0
		.amdhsa_wavefront_size32 1
		.amdhsa_uses_dynamic_stack 0
		.amdhsa_enable_private_segment 0
		.amdhsa_system_sgpr_workgroup_id_x 1
		.amdhsa_system_sgpr_workgroup_id_y 0
		.amdhsa_system_sgpr_workgroup_id_z 0
		.amdhsa_system_sgpr_workgroup_info 0
		.amdhsa_system_vgpr_workitem_id 0
		.amdhsa_next_free_vgpr 8
		.amdhsa_next_free_sgpr 16
		.amdhsa_reserve_vcc 0
		.amdhsa_float_round_mode_32 0
		.amdhsa_float_round_mode_16_64 0
		.amdhsa_float_denorm_mode_32 3
		.amdhsa_float_denorm_mode_16_64 3
		.amdhsa_dx10_clamp 1
		.amdhsa_ieee_mode 1
		.amdhsa_fp16_overflow 0
		.amdhsa_workgroup_processor_mode 1
		.amdhsa_memory_ordered 1
		.amdhsa_forward_progress 0
		.amdhsa_shared_vgpr_count 0
		.amdhsa_exception_fp_ieee_invalid_op 0
		.amdhsa_exception_fp_denorm_src 0
		.amdhsa_exception_fp_ieee_div_zero 0
		.amdhsa_exception_fp_ieee_overflow 0
		.amdhsa_exception_fp_ieee_underflow 0
		.amdhsa_exception_fp_ieee_inexact 0
		.amdhsa_exception_int_div_zero 0
	.end_amdhsa_kernel
	.section	.text._Z6kernelI27subtract_right_partial_tileLj256ELj1ELb1EJPdPiS1_jEEvDpT3_,"axG",@progbits,_Z6kernelI27subtract_right_partial_tileLj256ELj1ELb1EJPdPiS1_jEEvDpT3_,comdat
.Lfunc_end234:
	.size	_Z6kernelI27subtract_right_partial_tileLj256ELj1ELb1EJPdPiS1_jEEvDpT3_, .Lfunc_end234-_Z6kernelI27subtract_right_partial_tileLj256ELj1ELb1EJPdPiS1_jEEvDpT3_
                                        ; -- End function
	.section	.AMDGPU.csdata,"",@progbits
; Kernel info:
; codeLenInByte = 396
; NumSgprs: 16
; NumVgprs: 8
; ScratchSize: 0
; MemoryBound: 0
; FloatMode: 240
; IeeeMode: 1
; LDSByteSize: 4096 bytes/workgroup (compile time only)
; SGPRBlocks: 1
; VGPRBlocks: 0
; NumSGPRsForWavesPerEU: 16
; NumVGPRsForWavesPerEU: 8
; Occupancy: 16
; WaveLimiterHint : 0
; COMPUTE_PGM_RSRC2:SCRATCH_EN: 0
; COMPUTE_PGM_RSRC2:USER_SGPR: 15
; COMPUTE_PGM_RSRC2:TRAP_HANDLER: 0
; COMPUTE_PGM_RSRC2:TGID_X_EN: 1
; COMPUTE_PGM_RSRC2:TGID_Y_EN: 0
; COMPUTE_PGM_RSRC2:TGID_Z_EN: 0
; COMPUTE_PGM_RSRC2:TIDIG_COMP_CNT: 0
	.section	.text._Z6kernelI27subtract_right_partial_tileLj256ELj3ELb1EJPdPiS1_jEEvDpT3_,"axG",@progbits,_Z6kernelI27subtract_right_partial_tileLj256ELj3ELb1EJPdPiS1_jEEvDpT3_,comdat
	.protected	_Z6kernelI27subtract_right_partial_tileLj256ELj3ELb1EJPdPiS1_jEEvDpT3_ ; -- Begin function _Z6kernelI27subtract_right_partial_tileLj256ELj3ELb1EJPdPiS1_jEEvDpT3_
	.globl	_Z6kernelI27subtract_right_partial_tileLj256ELj3ELb1EJPdPiS1_jEEvDpT3_
	.p2align	8
	.type	_Z6kernelI27subtract_right_partial_tileLj256ELj3ELb1EJPdPiS1_jEEvDpT3_,@function
_Z6kernelI27subtract_right_partial_tileLj256ELj3ELb1EJPdPiS1_jEEvDpT3_: ; @_Z6kernelI27subtract_right_partial_tileLj256ELj3ELb1EJPdPiS1_jEEvDpT3_
; %bb.0:
	s_clause 0x1
	s_load_b128 s[4:7], s[0:1], 0x0
	s_load_b64 s[8:9], s[0:1], 0x10
	s_mov_b32 s13, 0
	s_mul_i32 s12, s15, 0x300
	v_lshlrev_b32_e32 v9, 3, v0
	s_lshl_b64 s[2:3], s[12:13], 3
	s_mov_b32 s10, s15
	v_mad_u32_u24 v10, v0, 3, 1
	v_mad_u32_u24 v11, v0, 3, 2
	;; [unrolled: 1-line block ×3, first 2 shown]
	v_or_b32_e32 v13, 0x800, v9
	s_waitcnt lgkmcnt(0)
	s_add_u32 s4, s4, s2
	s_addc_u32 s5, s5, s3
	v_add_co_u32 v1, s11, s4, v9
	s_delay_alu instid0(VALU_DEP_1) | instskip(SKIP_1) | instid1(VALU_DEP_2)
	v_add_co_ci_u32_e64 v2, null, s5, 0, s11
	s_mov_b32 s11, s13
	v_add_co_u32 v5, vcc_lo, 0x1000, v1
	s_delay_alu instid0(VALU_DEP_2)
	v_add_co_ci_u32_e32 v6, vcc_lo, 0, v2, vcc_lo
	s_clause 0x2
	global_load_b64 v[1:2], v9, s[4:5]
	global_load_b64 v[3:4], v9, s[4:5] offset:2048
	global_load_b64 v[5:6], v[5:6], off
	s_load_b32 s5, s[0:1], 0x18
	s_lshl_b64 s[0:1], s[10:11], 2
	s_delay_alu instid0(SALU_CYCLE_1)
	s_add_u32 s0, s6, s0
	s_addc_u32 s1, s7, s1
	s_load_b32 s1, s[0:1], 0x0
	s_waitcnt lgkmcnt(0)
	v_cvt_f32_u32_e32 v7, s5
	s_sub_i32 s6, 0, s5
	s_delay_alu instid0(VALU_DEP_1) | instskip(SKIP_2) | instid1(VALU_DEP_1)
	v_rcp_iflag_f32_e32 v7, v7
	s_waitcnt_depctr 0xfff
	v_mul_f32_e32 v7, 0x4f7ffffe, v7
	v_cvt_u32_f32_e32 v7, v7
	s_delay_alu instid0(VALU_DEP_1) | instskip(NEXT) | instid1(VALU_DEP_1)
	v_readfirstlane_b32 s4, v7
	s_mul_i32 s6, s6, s4
	s_delay_alu instid0(SALU_CYCLE_1) | instskip(NEXT) | instid1(SALU_CYCLE_1)
	s_mul_hi_u32 s6, s4, s6
	s_add_i32 s4, s4, s6
	s_delay_alu instid0(SALU_CYCLE_1) | instskip(NEXT) | instid1(SALU_CYCLE_1)
	s_mul_hi_u32 s4, s4, 0x300
	s_mul_i32 s6, s4, s5
	s_delay_alu instid0(SALU_CYCLE_1)
	s_sub_i32 s0, 0x300, s6
	s_add_i32 s6, s4, 1
	s_sub_i32 s7, s0, s5
	s_cmp_ge_u32 s0, s5
	s_cselect_b32 s4, s6, s4
	s_cselect_b32 s0, s7, s0
	s_add_i32 s6, s4, 1
	s_cmp_ge_u32 s0, s5
	s_cselect_b32 s4, s6, s4
	s_max_u32 s5, s5, 1
	s_add_i32 s4, s4, 1
	s_set_inst_prefetch_distance 0x1
	s_branch .LBB235_2
	.p2align	6
.LBB235_1:                              ;   in Loop: Header=BB235_2 Depth=1
	s_or_b32 exec_lo, exec_lo, s0
	v_add_f64 v[14:15], v[1:2], -v[3:4]
	v_add_f64 v[16:17], v[3:4], -v[5:6]
	v_cmp_gt_u32_e32 vcc_lo, s1, v10
	v_cmp_gt_u32_e64 s0, s1, v11
	v_add_f64 v[5:6], v[5:6], v[7:8]
	s_add_i32 s5, s5, -1
	s_barrier
	buffer_gl0_inv
	v_dual_cndmask_b32 v15, v2, v15 :: v_dual_cndmask_b32 v14, v1, v14
	v_cndmask_b32_e64 v17, v4, v17, s0
	v_cndmask_b32_e64 v16, v3, v16, s0
	s_add_i32 s0, s4, s1
	s_delay_alu instid0(VALU_DEP_3) | instskip(SKIP_1) | instid1(VALU_DEP_2)
	v_add_f64 v[1:2], v[1:2], v[14:15]
	s_mul_hi_u32 s1, s0, 0xaaaaaaab
	v_add_f64 v[3:4], v[3:4], v[16:17]
	s_lshr_b32 s1, s1, 9
	s_delay_alu instid0(SALU_CYCLE_1) | instskip(NEXT) | instid1(SALU_CYCLE_1)
	s_mulk_i32 s1, 0x300
	s_sub_i32 s1, s0, s1
	s_cmp_lg_u32 s5, 0
	s_cbranch_scc0 .LBB235_4
.LBB235_2:                              ; =>This Inner Loop Header: Depth=1
	s_waitcnt vmcnt(0)
	v_dual_mov_b32 v8, v6 :: v_dual_mov_b32 v7, v5
	s_mov_b32 s0, exec_lo
	ds_store_b64 v9, v[1:2] offset:2048
	s_waitcnt lgkmcnt(0)
	s_barrier
	buffer_gl0_inv
	v_cmpx_gt_u32_e64 s1, v12
	s_cbranch_execz .LBB235_1
; %bb.3:                                ;   in Loop: Header=BB235_2 Depth=1
	ds_load_b64 v[7:8], v13 offset:8
	s_waitcnt lgkmcnt(0)
	v_add_f64 v[7:8], v[5:6], -v[7:8]
	s_branch .LBB235_1
.LBB235_4:
	s_set_inst_prefetch_distance 0x2
	v_lshlrev_b32_e32 v0, 3, v0
	s_add_u32 s0, s8, s2
	s_addc_u32 s1, s9, s3
	s_delay_alu instid0(VALU_DEP_1) | instskip(NEXT) | instid1(VALU_DEP_1)
	v_add_co_u32 v7, s2, s0, v0
	v_add_co_ci_u32_e64 v8, null, s1, 0, s2
	s_delay_alu instid0(VALU_DEP_2) | instskip(NEXT) | instid1(VALU_DEP_2)
	v_add_co_u32 v7, vcc_lo, 0x1000, v7
	v_add_co_ci_u32_e32 v8, vcc_lo, 0, v8, vcc_lo
	s_clause 0x2
	global_store_b64 v0, v[1:2], s[0:1]
	global_store_b64 v0, v[3:4], s[0:1] offset:2048
	global_store_b64 v[7:8], v[5:6], off
	s_nop 0
	s_sendmsg sendmsg(MSG_DEALLOC_VGPRS)
	s_endpgm
	.section	.rodata,"a",@progbits
	.p2align	6, 0x0
	.amdhsa_kernel _Z6kernelI27subtract_right_partial_tileLj256ELj3ELb1EJPdPiS1_jEEvDpT3_
		.amdhsa_group_segment_fixed_size 4096
		.amdhsa_private_segment_fixed_size 0
		.amdhsa_kernarg_size 28
		.amdhsa_user_sgpr_count 15
		.amdhsa_user_sgpr_dispatch_ptr 0
		.amdhsa_user_sgpr_queue_ptr 0
		.amdhsa_user_sgpr_kernarg_segment_ptr 1
		.amdhsa_user_sgpr_dispatch_id 0
		.amdhsa_user_sgpr_private_segment_size 0
		.amdhsa_wavefront_size32 1
		.amdhsa_uses_dynamic_stack 0
		.amdhsa_enable_private_segment 0
		.amdhsa_system_sgpr_workgroup_id_x 1
		.amdhsa_system_sgpr_workgroup_id_y 0
		.amdhsa_system_sgpr_workgroup_id_z 0
		.amdhsa_system_sgpr_workgroup_info 0
		.amdhsa_system_vgpr_workitem_id 0
		.amdhsa_next_free_vgpr 18
		.amdhsa_next_free_sgpr 16
		.amdhsa_reserve_vcc 1
		.amdhsa_float_round_mode_32 0
		.amdhsa_float_round_mode_16_64 0
		.amdhsa_float_denorm_mode_32 3
		.amdhsa_float_denorm_mode_16_64 3
		.amdhsa_dx10_clamp 1
		.amdhsa_ieee_mode 1
		.amdhsa_fp16_overflow 0
		.amdhsa_workgroup_processor_mode 1
		.amdhsa_memory_ordered 1
		.amdhsa_forward_progress 0
		.amdhsa_shared_vgpr_count 0
		.amdhsa_exception_fp_ieee_invalid_op 0
		.amdhsa_exception_fp_denorm_src 0
		.amdhsa_exception_fp_ieee_div_zero 0
		.amdhsa_exception_fp_ieee_overflow 0
		.amdhsa_exception_fp_ieee_underflow 0
		.amdhsa_exception_fp_ieee_inexact 0
		.amdhsa_exception_int_div_zero 0
	.end_amdhsa_kernel
	.section	.text._Z6kernelI27subtract_right_partial_tileLj256ELj3ELb1EJPdPiS1_jEEvDpT3_,"axG",@progbits,_Z6kernelI27subtract_right_partial_tileLj256ELj3ELb1EJPdPiS1_jEEvDpT3_,comdat
.Lfunc_end235:
	.size	_Z6kernelI27subtract_right_partial_tileLj256ELj3ELb1EJPdPiS1_jEEvDpT3_, .Lfunc_end235-_Z6kernelI27subtract_right_partial_tileLj256ELj3ELb1EJPdPiS1_jEEvDpT3_
                                        ; -- End function
	.section	.AMDGPU.csdata,"",@progbits
; Kernel info:
; codeLenInByte = 636
; NumSgprs: 18
; NumVgprs: 18
; ScratchSize: 0
; MemoryBound: 0
; FloatMode: 240
; IeeeMode: 1
; LDSByteSize: 4096 bytes/workgroup (compile time only)
; SGPRBlocks: 2
; VGPRBlocks: 2
; NumSGPRsForWavesPerEU: 18
; NumVGPRsForWavesPerEU: 18
; Occupancy: 16
; WaveLimiterHint : 1
; COMPUTE_PGM_RSRC2:SCRATCH_EN: 0
; COMPUTE_PGM_RSRC2:USER_SGPR: 15
; COMPUTE_PGM_RSRC2:TRAP_HANDLER: 0
; COMPUTE_PGM_RSRC2:TGID_X_EN: 1
; COMPUTE_PGM_RSRC2:TGID_Y_EN: 0
; COMPUTE_PGM_RSRC2:TGID_Z_EN: 0
; COMPUTE_PGM_RSRC2:TIDIG_COMP_CNT: 0
	.section	.text._Z6kernelI27subtract_right_partial_tileLj256ELj4ELb1EJPdPiS1_jEEvDpT3_,"axG",@progbits,_Z6kernelI27subtract_right_partial_tileLj256ELj4ELb1EJPdPiS1_jEEvDpT3_,comdat
	.protected	_Z6kernelI27subtract_right_partial_tileLj256ELj4ELb1EJPdPiS1_jEEvDpT3_ ; -- Begin function _Z6kernelI27subtract_right_partial_tileLj256ELj4ELb1EJPdPiS1_jEEvDpT3_
	.globl	_Z6kernelI27subtract_right_partial_tileLj256ELj4ELb1EJPdPiS1_jEEvDpT3_
	.p2align	8
	.type	_Z6kernelI27subtract_right_partial_tileLj256ELj4ELb1EJPdPiS1_jEEvDpT3_,@function
_Z6kernelI27subtract_right_partial_tileLj256ELj4ELb1EJPdPiS1_jEEvDpT3_: ; @_Z6kernelI27subtract_right_partial_tileLj256ELj4ELb1EJPdPiS1_jEEvDpT3_
; %bb.0:
	s_clause 0x1
	s_load_b128 s[4:7], s[0:1], 0x0
	s_load_b64 s[8:9], s[0:1], 0x10
	s_mov_b32 s13, 0
	s_lshl_b32 s12, s15, 10
	v_lshlrev_b32_e32 v11, 3, v0
	s_lshl_b64 s[2:3], s[12:13], 3
	s_load_b32 s12, s[0:1], 0x18
	s_mov_b32 s10, s15
	s_delay_alu instid0(VALU_DEP_1) | instskip(SKIP_4) | instid1(VALU_DEP_1)
	v_or_b32_e32 v16, 0x800, v11
	s_waitcnt lgkmcnt(0)
	s_add_u32 s4, s4, s2
	s_addc_u32 s5, s5, s3
	v_add_co_u32 v1, s11, s4, v11
	v_add_co_ci_u32_e64 v2, null, s5, 0, s11
	v_cvt_f32_u32_e32 v9, s12
	s_delay_alu instid0(VALU_DEP_3) | instskip(NEXT) | instid1(VALU_DEP_3)
	v_add_co_u32 v7, vcc_lo, 0x1000, v1
	v_add_co_ci_u32_e32 v8, vcc_lo, 0, v2, vcc_lo
	s_delay_alu instid0(VALU_DEP_3)
	v_rcp_iflag_f32_e32 v9, v9
	s_clause 0x3
	global_load_b64 v[1:2], v11, s[4:5]
	global_load_b64 v[3:4], v11, s[4:5] offset:2048
	global_load_b64 v[5:6], v[7:8], off
	global_load_b64 v[7:8], v[7:8], off offset:2048
	s_mov_b32 s11, s13
	s_delay_alu instid0(SALU_CYCLE_1) | instskip(NEXT) | instid1(SALU_CYCLE_1)
	s_lshl_b64 s[0:1], s[10:11], 2
	s_add_u32 s0, s6, s0
	s_addc_u32 s1, s7, s1
	s_sub_i32 s5, 0, s12
	v_mul_f32_e32 v9, 0x4f7ffffe, v9
	s_delay_alu instid0(VALU_DEP_1) | instskip(NEXT) | instid1(VALU_DEP_1)
	v_cvt_u32_f32_e32 v9, v9
	v_readfirstlane_b32 s4, v9
	v_lshlrev_b32_e32 v9, 2, v0
	s_delay_alu instid0(VALU_DEP_2) | instskip(NEXT) | instid1(VALU_DEP_1)
	s_mul_i32 s5, s5, s4
	v_or_b32_e32 v12, 1, v9
	s_mul_hi_u32 s5, s4, s5
	v_or_b32_e32 v13, 2, v9
	s_add_i32 s4, s4, s5
	v_or_b32_e32 v14, 3, v9
	s_lshr_b32 s5, s4, 22
	s_load_b32 s4, s[0:1], 0x0
	s_mul_i32 s6, s5, s12
	s_add_i32 s1, s5, 1
	s_sub_i32 s0, 0x400, s6
	v_add_nc_u32_e32 v15, 4, v9
	s_sub_i32 s6, s0, s12
	s_cmp_ge_u32 s0, s12
	s_cselect_b32 s1, s1, s5
	s_cselect_b32 s0, s6, s0
	s_add_i32 s5, s1, 1
	s_cmp_ge_u32 s0, s12
	s_cselect_b32 s5, s5, s1
	s_max_u32 s6, s12, 1
	s_add_i32 s5, s5, 1
	s_branch .LBB236_2
.LBB236_1:                              ;   in Loop: Header=BB236_2 Depth=1
	s_or_b32 exec_lo, exec_lo, s0
	v_add_f64 v[17:18], v[1:2], -v[3:4]
	v_add_f64 v[19:20], v[3:4], -v[5:6]
	;; [unrolled: 1-line block ×3, first 2 shown]
	v_cmp_gt_u32_e32 vcc_lo, s4, v12
	v_cmp_gt_u32_e64 s0, s4, v13
	v_cmp_gt_u32_e64 s1, s4, v14
	v_add_f64 v[7:8], v[7:8], v[9:10]
	s_add_i32 s6, s6, -1
	s_barrier
	buffer_gl0_inv
	v_dual_cndmask_b32 v18, v2, v18 :: v_dual_cndmask_b32 v17, v1, v17
	v_cndmask_b32_e64 v20, v4, v20, s0
	v_cndmask_b32_e64 v19, v3, v19, s0
	;; [unrolled: 1-line block ×4, first 2 shown]
	v_add_f64 v[1:2], v[1:2], v[17:18]
	s_add_i32 s0, s5, s4
	v_add_f64 v[3:4], v[3:4], v[19:20]
	s_and_b32 s4, s0, 0x3ff
	v_add_f64 v[5:6], v[5:6], v[21:22]
	s_cmp_lg_u32 s6, 0
	s_cbranch_scc0 .LBB236_4
.LBB236_2:                              ; =>This Inner Loop Header: Depth=1
	s_waitcnt vmcnt(0)
	v_dual_mov_b32 v10, v8 :: v_dual_mov_b32 v9, v7
	s_mov_b32 s0, exec_lo
	ds_store_b64 v11, v[1:2] offset:2048
	s_waitcnt lgkmcnt(0)
	s_barrier
	buffer_gl0_inv
	v_cmpx_gt_u32_e64 s4, v15
	s_cbranch_execz .LBB236_1
; %bb.3:                                ;   in Loop: Header=BB236_2 Depth=1
	ds_load_b64 v[9:10], v16 offset:8
	s_waitcnt lgkmcnt(0)
	v_add_f64 v[9:10], v[7:8], -v[9:10]
	s_branch .LBB236_1
.LBB236_4:
	v_lshlrev_b32_e32 v0, 3, v0
	s_add_u32 s0, s8, s2
	s_addc_u32 s1, s9, s3
	s_delay_alu instid0(VALU_DEP_1) | instskip(NEXT) | instid1(VALU_DEP_1)
	v_add_co_u32 v9, s2, s0, v0
	v_add_co_ci_u32_e64 v10, null, s1, 0, s2
	s_delay_alu instid0(VALU_DEP_2) | instskip(NEXT) | instid1(VALU_DEP_2)
	v_add_co_u32 v9, vcc_lo, 0x1000, v9
	v_add_co_ci_u32_e32 v10, vcc_lo, 0, v10, vcc_lo
	s_clause 0x3
	global_store_b64 v0, v[1:2], s[0:1]
	global_store_b64 v0, v[3:4], s[0:1] offset:2048
	global_store_b64 v[9:10], v[5:6], off
	global_store_b64 v[9:10], v[7:8], off offset:2048
	s_nop 0
	s_sendmsg sendmsg(MSG_DEALLOC_VGPRS)
	s_endpgm
	.section	.rodata,"a",@progbits
	.p2align	6, 0x0
	.amdhsa_kernel _Z6kernelI27subtract_right_partial_tileLj256ELj4ELb1EJPdPiS1_jEEvDpT3_
		.amdhsa_group_segment_fixed_size 4096
		.amdhsa_private_segment_fixed_size 0
		.amdhsa_kernarg_size 28
		.amdhsa_user_sgpr_count 15
		.amdhsa_user_sgpr_dispatch_ptr 0
		.amdhsa_user_sgpr_queue_ptr 0
		.amdhsa_user_sgpr_kernarg_segment_ptr 1
		.amdhsa_user_sgpr_dispatch_id 0
		.amdhsa_user_sgpr_private_segment_size 0
		.amdhsa_wavefront_size32 1
		.amdhsa_uses_dynamic_stack 0
		.amdhsa_enable_private_segment 0
		.amdhsa_system_sgpr_workgroup_id_x 1
		.amdhsa_system_sgpr_workgroup_id_y 0
		.amdhsa_system_sgpr_workgroup_id_z 0
		.amdhsa_system_sgpr_workgroup_info 0
		.amdhsa_system_vgpr_workitem_id 0
		.amdhsa_next_free_vgpr 23
		.amdhsa_next_free_sgpr 16
		.amdhsa_reserve_vcc 1
		.amdhsa_float_round_mode_32 0
		.amdhsa_float_round_mode_16_64 0
		.amdhsa_float_denorm_mode_32 3
		.amdhsa_float_denorm_mode_16_64 3
		.amdhsa_dx10_clamp 1
		.amdhsa_ieee_mode 1
		.amdhsa_fp16_overflow 0
		.amdhsa_workgroup_processor_mode 1
		.amdhsa_memory_ordered 1
		.amdhsa_forward_progress 0
		.amdhsa_shared_vgpr_count 0
		.amdhsa_exception_fp_ieee_invalid_op 0
		.amdhsa_exception_fp_denorm_src 0
		.amdhsa_exception_fp_ieee_div_zero 0
		.amdhsa_exception_fp_ieee_overflow 0
		.amdhsa_exception_fp_ieee_underflow 0
		.amdhsa_exception_fp_ieee_inexact 0
		.amdhsa_exception_int_div_zero 0
	.end_amdhsa_kernel
	.section	.text._Z6kernelI27subtract_right_partial_tileLj256ELj4ELb1EJPdPiS1_jEEvDpT3_,"axG",@progbits,_Z6kernelI27subtract_right_partial_tileLj256ELj4ELb1EJPdPiS1_jEEvDpT3_,comdat
.Lfunc_end236:
	.size	_Z6kernelI27subtract_right_partial_tileLj256ELj4ELb1EJPdPiS1_jEEvDpT3_, .Lfunc_end236-_Z6kernelI27subtract_right_partial_tileLj256ELj4ELb1EJPdPiS1_jEEvDpT3_
                                        ; -- End function
	.section	.AMDGPU.csdata,"",@progbits
; Kernel info:
; codeLenInByte = 636
; NumSgprs: 18
; NumVgprs: 23
; ScratchSize: 0
; MemoryBound: 0
; FloatMode: 240
; IeeeMode: 1
; LDSByteSize: 4096 bytes/workgroup (compile time only)
; SGPRBlocks: 2
; VGPRBlocks: 2
; NumSGPRsForWavesPerEU: 18
; NumVGPRsForWavesPerEU: 23
; Occupancy: 16
; WaveLimiterHint : 1
; COMPUTE_PGM_RSRC2:SCRATCH_EN: 0
; COMPUTE_PGM_RSRC2:USER_SGPR: 15
; COMPUTE_PGM_RSRC2:TRAP_HANDLER: 0
; COMPUTE_PGM_RSRC2:TGID_X_EN: 1
; COMPUTE_PGM_RSRC2:TGID_Y_EN: 0
; COMPUTE_PGM_RSRC2:TGID_Z_EN: 0
; COMPUTE_PGM_RSRC2:TIDIG_COMP_CNT: 0
	.section	.text._Z6kernelI27subtract_right_partial_tileLj256ELj8ELb1EJPdPiS1_jEEvDpT3_,"axG",@progbits,_Z6kernelI27subtract_right_partial_tileLj256ELj8ELb1EJPdPiS1_jEEvDpT3_,comdat
	.protected	_Z6kernelI27subtract_right_partial_tileLj256ELj8ELb1EJPdPiS1_jEEvDpT3_ ; -- Begin function _Z6kernelI27subtract_right_partial_tileLj256ELj8ELb1EJPdPiS1_jEEvDpT3_
	.globl	_Z6kernelI27subtract_right_partial_tileLj256ELj8ELb1EJPdPiS1_jEEvDpT3_
	.p2align	8
	.type	_Z6kernelI27subtract_right_partial_tileLj256ELj8ELb1EJPdPiS1_jEEvDpT3_,@function
_Z6kernelI27subtract_right_partial_tileLj256ELj8ELb1EJPdPiS1_jEEvDpT3_: ; @_Z6kernelI27subtract_right_partial_tileLj256ELj8ELb1EJPdPiS1_jEEvDpT3_
; %bb.0:
	s_clause 0x1
	s_load_b128 s[4:7], s[0:1], 0x0
	s_load_b64 s[10:11], s[0:1], 0x10
	s_mov_b32 s13, 0
	s_lshl_b32 s12, s15, 11
	v_lshlrev_b32_e32 v19, 3, v0
	s_lshl_b64 s[8:9], s[12:13], 3
	s_mov_b32 s2, s15
	s_delay_alu instid0(VALU_DEP_1)
	v_or_b32_e32 v20, 1, v19
	v_or_b32_e32 v21, 2, v19
	;; [unrolled: 1-line block ×7, first 2 shown]
	v_add_nc_u32_e32 v27, 8, v19
	v_or_b32_e32 v28, 0x800, v19
	s_waitcnt lgkmcnt(0)
	s_add_u32 s4, s4, s8
	s_addc_u32 s5, s5, s9
	v_add_co_u32 v5, s3, s4, v19
	s_delay_alu instid0(VALU_DEP_1)
	v_add_co_ci_u32_e64 v6, null, s5, 0, s3
	s_clause 0x1
	global_load_b64 v[3:4], v19, s[4:5]
	global_load_b64 v[1:2], v19, s[4:5] offset:2048
	v_add_co_u32 v7, vcc_lo, 0x1000, v5
	v_add_co_ci_u32_e32 v8, vcc_lo, 0, v6, vcc_lo
	v_add_co_u32 v9, vcc_lo, v5, 0x2000
	v_add_co_ci_u32_e32 v10, vcc_lo, 0, v6, vcc_lo
	;; [unrolled: 2-line block ×4, first 2 shown]
	s_clause 0x5
	global_load_b64 v[5:6], v[9:10], off offset:-4096
	global_load_b64 v[15:16], v[9:10], off
	global_load_b64 v[13:14], v[7:8], off offset:2048
	global_load_b64 v[11:12], v[11:12], off offset:2048
	global_load_b64 v[9:10], v[17:18], off
	global_load_b64 v[7:8], v[17:18], off offset:2048
	s_load_b32 s4, s[0:1], 0x18
	s_mov_b32 s3, s13
	s_delay_alu instid0(SALU_CYCLE_1) | instskip(NEXT) | instid1(SALU_CYCLE_1)
	s_lshl_b64 s[0:1], s[2:3], 2
	s_add_u32 s0, s6, s0
	s_addc_u32 s1, s7, s1
	s_load_b32 s6, s[0:1], 0x0
	s_waitcnt lgkmcnt(0)
	v_cvt_f32_u32_e32 v17, s4
	s_sub_i32 s3, 0, s4
	s_delay_alu instid0(VALU_DEP_1) | instskip(SKIP_2) | instid1(VALU_DEP_1)
	v_rcp_iflag_f32_e32 v17, v17
	s_waitcnt_depctr 0xfff
	v_mul_f32_e32 v17, 0x4f7ffffe, v17
	v_cvt_u32_f32_e32 v17, v17
	s_delay_alu instid0(VALU_DEP_1) | instskip(NEXT) | instid1(VALU_DEP_1)
	v_readfirstlane_b32 s2, v17
	s_mul_i32 s3, s3, s2
	s_delay_alu instid0(SALU_CYCLE_1) | instskip(NEXT) | instid1(SALU_CYCLE_1)
	s_mul_hi_u32 s3, s2, s3
	s_add_i32 s2, s2, s3
	s_delay_alu instid0(SALU_CYCLE_1) | instskip(NEXT) | instid1(SALU_CYCLE_1)
	s_lshr_b32 s2, s2, 21
	s_mul_i32 s3, s2, s4
	s_add_i32 s5, s2, 1
	s_sub_i32 s3, 0x800, s3
	s_delay_alu instid0(SALU_CYCLE_1)
	s_sub_i32 s7, s3, s4
	s_cmp_ge_u32 s3, s4
	s_cselect_b32 s0, s5, s2
	s_cselect_b32 s1, s7, s3
	s_add_i32 s2, s0, 1
	s_cmp_ge_u32 s1, s4
	s_cselect_b32 s7, s2, s0
	s_max_u32 s12, s4, 1
	s_add_i32 s7, s7, 1
	s_branch .LBB237_2
.LBB237_1:                              ;   in Loop: Header=BB237_2 Depth=1
	s_or_b32 exec_lo, exec_lo, s0
	v_add_f64 v[29:30], v[3:4], -v[1:2]
	v_add_f64 v[31:32], v[1:2], -v[5:6]
	;; [unrolled: 1-line block ×7, first 2 shown]
	v_cmp_gt_u32_e32 vcc_lo, s6, v21
	v_cmp_gt_u32_e64 s0, s6, v22
	v_cmp_gt_u32_e64 s1, s6, v23
	;; [unrolled: 1-line block ×6, first 2 shown]
	v_add_f64 v[7:8], v[7:8], v[17:18]
	s_add_i32 s12, s12, -1
	s_barrier
	buffer_gl0_inv
	v_cndmask_b32_e64 v30, v4, v30, s2
	v_cndmask_b32_e64 v29, v3, v29, s2
	v_dual_cndmask_b32 v32, v2, v32 :: v_dual_cndmask_b32 v31, v1, v31
	v_cndmask_b32_e64 v34, v6, v34, s0
	v_cndmask_b32_e64 v33, v5, v33, s0
	;; [unrolled: 1-line block ×10, first 2 shown]
	v_add_f64 v[3:4], v[3:4], v[29:30]
	v_add_f64 v[1:2], v[1:2], v[31:32]
	;; [unrolled: 1-line block ×7, first 2 shown]
	s_add_i32 s0, s7, s6
	s_delay_alu instid0(SALU_CYCLE_1)
	s_and_b32 s6, s0, 0x7ff
	s_cmp_lg_u32 s12, 0
	s_cbranch_scc0 .LBB237_4
.LBB237_2:                              ; =>This Inner Loop Header: Depth=1
	s_waitcnt vmcnt(0)
	v_dual_mov_b32 v18, v8 :: v_dual_mov_b32 v17, v7
	s_mov_b32 s0, exec_lo
	ds_store_b64 v19, v[3:4] offset:2048
	s_waitcnt lgkmcnt(0)
	s_barrier
	buffer_gl0_inv
	v_cmpx_gt_u32_e64 s6, v27
	s_cbranch_execz .LBB237_1
; %bb.3:                                ;   in Loop: Header=BB237_2 Depth=1
	ds_load_b64 v[17:18], v28 offset:8
	s_waitcnt lgkmcnt(0)
	v_add_f64 v[17:18], v[7:8], -v[17:18]
	s_branch .LBB237_1
.LBB237_4:
	v_lshlrev_b32_e32 v0, 3, v0
	s_add_u32 s0, s10, s8
	s_addc_u32 s1, s11, s9
	s_delay_alu instid0(VALU_DEP_1) | instskip(NEXT) | instid1(VALU_DEP_1)
	v_add_co_u32 v23, s2, s0, v0
	v_add_co_ci_u32_e64 v24, null, s1, 0, s2
	s_delay_alu instid0(VALU_DEP_2) | instskip(NEXT) | instid1(VALU_DEP_2)
	v_add_co_u32 v17, vcc_lo, 0x1000, v23
	v_add_co_ci_u32_e32 v18, vcc_lo, 0, v24, vcc_lo
	v_add_co_u32 v19, vcc_lo, v23, 0x2000
	v_add_co_ci_u32_e32 v20, vcc_lo, 0, v24, vcc_lo
	;; [unrolled: 2-line block ×3, first 2 shown]
	global_store_b64 v[19:20], v[15:16], off
	v_add_co_u32 v15, vcc_lo, 0x3000, v23
	v_add_co_ci_u32_e32 v16, vcc_lo, 0, v24, vcc_lo
	s_clause 0x6
	global_store_b64 v0, v[3:4], s[0:1]
	global_store_b64 v0, v[1:2], s[0:1] offset:2048
	global_store_b64 v[17:18], v[13:14], off offset:2048
	global_store_b64 v[21:22], v[11:12], off offset:2048
	global_store_b64 v[15:16], v[9:10], off
	global_store_b64 v[19:20], v[5:6], off offset:-4096
	global_store_b64 v[15:16], v[7:8], off offset:2048
	s_nop 0
	s_sendmsg sendmsg(MSG_DEALLOC_VGPRS)
	s_endpgm
	.section	.rodata,"a",@progbits
	.p2align	6, 0x0
	.amdhsa_kernel _Z6kernelI27subtract_right_partial_tileLj256ELj8ELb1EJPdPiS1_jEEvDpT3_
		.amdhsa_group_segment_fixed_size 4096
		.amdhsa_private_segment_fixed_size 0
		.amdhsa_kernarg_size 28
		.amdhsa_user_sgpr_count 15
		.amdhsa_user_sgpr_dispatch_ptr 0
		.amdhsa_user_sgpr_queue_ptr 0
		.amdhsa_user_sgpr_kernarg_segment_ptr 1
		.amdhsa_user_sgpr_dispatch_id 0
		.amdhsa_user_sgpr_private_segment_size 0
		.amdhsa_wavefront_size32 1
		.amdhsa_uses_dynamic_stack 0
		.amdhsa_enable_private_segment 0
		.amdhsa_system_sgpr_workgroup_id_x 1
		.amdhsa_system_sgpr_workgroup_id_y 0
		.amdhsa_system_sgpr_workgroup_id_z 0
		.amdhsa_system_sgpr_workgroup_info 0
		.amdhsa_system_vgpr_workitem_id 0
		.amdhsa_next_free_vgpr 43
		.amdhsa_next_free_sgpr 16
		.amdhsa_reserve_vcc 1
		.amdhsa_float_round_mode_32 0
		.amdhsa_float_round_mode_16_64 0
		.amdhsa_float_denorm_mode_32 3
		.amdhsa_float_denorm_mode_16_64 3
		.amdhsa_dx10_clamp 1
		.amdhsa_ieee_mode 1
		.amdhsa_fp16_overflow 0
		.amdhsa_workgroup_processor_mode 1
		.amdhsa_memory_ordered 1
		.amdhsa_forward_progress 0
		.amdhsa_shared_vgpr_count 0
		.amdhsa_exception_fp_ieee_invalid_op 0
		.amdhsa_exception_fp_denorm_src 0
		.amdhsa_exception_fp_ieee_div_zero 0
		.amdhsa_exception_fp_ieee_overflow 0
		.amdhsa_exception_fp_ieee_underflow 0
		.amdhsa_exception_fp_ieee_inexact 0
		.amdhsa_exception_int_div_zero 0
	.end_amdhsa_kernel
	.section	.text._Z6kernelI27subtract_right_partial_tileLj256ELj8ELb1EJPdPiS1_jEEvDpT3_,"axG",@progbits,_Z6kernelI27subtract_right_partial_tileLj256ELj8ELb1EJPdPiS1_jEEvDpT3_,comdat
.Lfunc_end237:
	.size	_Z6kernelI27subtract_right_partial_tileLj256ELj8ELb1EJPdPiS1_jEEvDpT3_, .Lfunc_end237-_Z6kernelI27subtract_right_partial_tileLj256ELj8ELb1EJPdPiS1_jEEvDpT3_
                                        ; -- End function
	.section	.AMDGPU.csdata,"",@progbits
; Kernel info:
; codeLenInByte = 992
; NumSgprs: 18
; NumVgprs: 43
; ScratchSize: 0
; MemoryBound: 0
; FloatMode: 240
; IeeeMode: 1
; LDSByteSize: 4096 bytes/workgroup (compile time only)
; SGPRBlocks: 2
; VGPRBlocks: 5
; NumSGPRsForWavesPerEU: 18
; NumVGPRsForWavesPerEU: 43
; Occupancy: 16
; WaveLimiterHint : 1
; COMPUTE_PGM_RSRC2:SCRATCH_EN: 0
; COMPUTE_PGM_RSRC2:USER_SGPR: 15
; COMPUTE_PGM_RSRC2:TRAP_HANDLER: 0
; COMPUTE_PGM_RSRC2:TGID_X_EN: 1
; COMPUTE_PGM_RSRC2:TGID_Y_EN: 0
; COMPUTE_PGM_RSRC2:TGID_Z_EN: 0
; COMPUTE_PGM_RSRC2:TIDIG_COMP_CNT: 0
	.section	.text._Z6kernelI27subtract_right_partial_tileLj256ELj16ELb1EJPdPiS1_jEEvDpT3_,"axG",@progbits,_Z6kernelI27subtract_right_partial_tileLj256ELj16ELb1EJPdPiS1_jEEvDpT3_,comdat
	.protected	_Z6kernelI27subtract_right_partial_tileLj256ELj16ELb1EJPdPiS1_jEEvDpT3_ ; -- Begin function _Z6kernelI27subtract_right_partial_tileLj256ELj16ELb1EJPdPiS1_jEEvDpT3_
	.globl	_Z6kernelI27subtract_right_partial_tileLj256ELj16ELb1EJPdPiS1_jEEvDpT3_
	.p2align	8
	.type	_Z6kernelI27subtract_right_partial_tileLj256ELj16ELb1EJPdPiS1_jEEvDpT3_,@function
_Z6kernelI27subtract_right_partial_tileLj256ELj16ELb1EJPdPiS1_jEEvDpT3_: ; @_Z6kernelI27subtract_right_partial_tileLj256ELj16ELb1EJPdPiS1_jEEvDpT3_
; %bb.0:
	s_clause 0x1
	s_load_b128 s[4:7], s[0:1], 0x0
	s_load_b64 s[10:11], s[0:1], 0x10
	s_mov_b32 s13, 0
	s_lshl_b32 s12, s15, 12
	v_lshlrev_b32_e32 v35, 3, v0
	s_lshl_b64 s[8:9], s[12:13], 3
	s_mov_b32 s2, s15
	s_delay_alu instid0(VALU_DEP_1) | instskip(SKIP_4) | instid1(VALU_DEP_1)
	v_or_b32_e32 v52, 0x800, v35
	s_waitcnt lgkmcnt(0)
	s_add_u32 s4, s4, s8
	s_addc_u32 s5, s5, s9
	v_add_co_u32 v21, s3, s4, v35
	v_add_co_ci_u32_e64 v22, null, s5, 0, s3
	s_clause 0x1
	global_load_b64 v[11:12], v35, s[4:5]
	global_load_b64 v[9:10], v35, s[4:5] offset:2048
	v_add_co_u32 v3, vcc_lo, 0x1000, v21
	v_add_co_ci_u32_e32 v4, vcc_lo, 0, v22, vcc_lo
	v_add_co_u32 v5, vcc_lo, v21, 0x2000
	v_add_co_ci_u32_e32 v6, vcc_lo, 0, v22, vcc_lo
	v_add_co_u32 v15, vcc_lo, 0x2000, v21
	v_add_co_ci_u32_e32 v16, vcc_lo, 0, v22, vcc_lo
	v_add_co_u32 v17, vcc_lo, 0x3000, v21
	v_add_co_ci_u32_e32 v18, vcc_lo, 0, v22, vcc_lo
	v_add_co_u32 v13, vcc_lo, v21, 0x4000
	v_add_co_ci_u32_e32 v14, vcc_lo, 0, v22, vcc_lo
	v_add_co_u32 v19, vcc_lo, 0x4000, v21
	v_add_co_ci_u32_e32 v20, vcc_lo, 0, v22, vcc_lo
	s_clause 0x7
	global_load_b64 v[1:2], v[5:6], off offset:-4096
	global_load_b64 v[27:28], v[5:6], off
	global_load_b64 v[7:8], v[13:14], off offset:-4096
	global_load_b64 v[13:14], v[13:14], off
	global_load_b64 v[31:32], v[3:4], off offset:2048
	global_load_b64 v[29:30], v[15:16], off offset:2048
	;; [unrolled: 1-line block ×4, first 2 shown]
	v_add_co_u32 v15, vcc_lo, 0x5000, v21
	v_add_co_ci_u32_e32 v16, vcc_lo, 0, v22, vcc_lo
	v_add_co_u32 v17, vcc_lo, v21, 0x6000
	v_add_co_ci_u32_e32 v18, vcc_lo, 0, v22, vcc_lo
	v_add_co_u32 v19, vcc_lo, 0x6000, v21
	v_add_co_ci_u32_e32 v20, vcc_lo, 0, v22, vcc_lo
	v_add_co_u32 v33, vcc_lo, 0x7000, v21
	v_add_co_ci_u32_e32 v34, vcc_lo, 0, v22, vcc_lo
	s_clause 0x5
	global_load_b64 v[25:26], v[17:18], off offset:-4096
	global_load_b64 v[23:24], v[17:18], off
	global_load_b64 v[21:22], v[15:16], off offset:2048
	global_load_b64 v[19:20], v[19:20], off offset:2048
	global_load_b64 v[17:18], v[33:34], off
	global_load_b64 v[15:16], v[33:34], off offset:2048
	s_load_b32 s4, s[0:1], 0x18
	s_mov_b32 s3, s13
	s_delay_alu instid0(SALU_CYCLE_1) | instskip(NEXT) | instid1(SALU_CYCLE_1)
	s_lshl_b64 s[0:1], s[2:3], 2
	s_add_u32 s0, s6, s0
	s_addc_u32 s1, s7, s1
	s_load_b32 s12, s[0:1], 0x0
	s_waitcnt lgkmcnt(0)
	v_cvt_f32_u32_e32 v33, s4
	s_sub_i32 s3, 0, s4
	s_delay_alu instid0(VALU_DEP_1) | instskip(SKIP_2) | instid1(VALU_DEP_1)
	v_rcp_iflag_f32_e32 v33, v33
	s_waitcnt_depctr 0xfff
	v_mul_f32_e32 v33, 0x4f7ffffe, v33
	v_cvt_u32_f32_e32 v33, v33
	s_delay_alu instid0(VALU_DEP_1) | instskip(SKIP_1) | instid1(VALU_DEP_2)
	v_readfirstlane_b32 s2, v33
	v_lshlrev_b32_e32 v33, 4, v0
	s_mul_i32 s3, s3, s2
	s_delay_alu instid0(VALU_DEP_1)
	v_or_b32_e32 v36, 1, v33
	s_mul_hi_u32 s3, s2, s3
	v_or_b32_e32 v37, 2, v33
	s_add_i32 s2, s2, s3
	v_or_b32_e32 v38, 3, v33
	s_lshr_b32 s2, s2, 20
	v_or_b32_e32 v39, 4, v33
	s_mul_i32 s3, s2, s4
	s_add_i32 s5, s2, 1
	s_sub_i32 s3, 0x1000, s3
	v_or_b32_e32 v40, 5, v33
	s_sub_i32 s6, s3, s4
	s_cmp_ge_u32 s3, s4
	v_or_b32_e32 v41, 6, v33
	s_cselect_b32 s2, s5, s2
	s_cselect_b32 s3, s6, s3
	s_add_i32 s5, s2, 1
	s_cmp_ge_u32 s3, s4
	v_or_b32_e32 v42, 7, v33
	v_or_b32_e32 v43, 8, v33
	;; [unrolled: 1-line block ×9, first 2 shown]
	v_add_nc_u32_e32 v51, 16, v33
	s_cselect_b32 s13, s5, s2
	s_max_u32 s14, s4, 1
	s_add_i32 s13, s13, 1
	s_branch .LBB238_2
.LBB238_1:                              ;   in Loop: Header=BB238_2 Depth=1
	s_or_b32 exec_lo, exec_lo, s0
	v_add_f64 v[55:56], v[9:10], -v[1:2]
	v_add_f64 v[57:58], v[1:2], -v[31:32]
	v_add_f64 v[71:72], v[3:4], -v[25:26]
	v_add_f64 v[59:60], v[31:32], -v[27:28]
	v_add_f64 v[73:74], v[25:26], -v[21:22]
	v_add_f64 v[75:76], v[21:22], -v[23:24]
	v_add_f64 v[53:54], v[11:12], -v[9:10]
	v_add_f64 v[61:62], v[27:28], -v[29:30]
	v_add_f64 v[63:64], v[29:30], -v[7:8]
	v_add_f64 v[65:66], v[7:8], -v[5:6]
	v_add_f64 v[67:68], v[5:6], -v[13:14]
	v_add_f64 v[69:70], v[13:14], -v[3:4]
	v_add_f64 v[77:78], v[23:24], -v[19:20]
	v_add_f64 v[79:80], v[19:20], -v[17:18]
	v_add_f64 v[81:82], v[17:18], -v[15:16]
	v_cmp_gt_u32_e32 vcc_lo, s12, v37
	v_cmp_gt_u32_e64 s0, s12, v38
	v_cmp_gt_u32_e64 s1, s12, v39
	;; [unrolled: 1-line block ×8, first 2 shown]
	v_add_f64 v[15:16], v[15:16], v[33:34]
	s_add_i32 s14, s14, -1
	s_barrier
	buffer_gl0_inv
	v_dual_cndmask_b32 v56, v10, v56 :: v_dual_cndmask_b32 v55, v9, v55
	v_cmp_gt_u32_e32 vcc_lo, s12, v45
	v_cndmask_b32_e64 v58, v2, v58, s0
	v_cndmask_b32_e64 v57, v1, v57, s0
	v_cmp_gt_u32_e64 s0, s12, v46
	v_cndmask_b32_e64 v60, v32, v60, s1
	v_dual_cndmask_b32 v72, v4, v72 :: v_dual_cndmask_b32 v71, v3, v71
	v_cmp_gt_u32_e32 vcc_lo, s12, v47
	v_cndmask_b32_e64 v59, v31, v59, s1
	v_cndmask_b32_e64 v74, v26, v74, s0
	;; [unrolled: 1-line block ×3, first 2 shown]
	v_cmp_gt_u32_e64 s0, s12, v48
	v_dual_cndmask_b32 v76, v22, v76 :: v_dual_cndmask_b32 v75, v21, v75
	v_cmp_gt_u32_e32 vcc_lo, s12, v49
	v_cmp_gt_u32_e64 s1, s12, v50
	v_cndmask_b32_e64 v54, v12, v54, s4
	v_cndmask_b32_e64 v53, v11, v53, s4
	;; [unrolled: 1-line block ×14, first 2 shown]
	v_dual_cndmask_b32 v80, v20, v80 :: v_dual_cndmask_b32 v79, v19, v79
	v_cndmask_b32_e64 v82, v18, v82, s1
	v_cndmask_b32_e64 v81, v17, v81, s1
	v_add_f64 v[11:12], v[11:12], v[53:54]
	v_add_f64 v[9:10], v[9:10], v[55:56]
	v_add_f64 v[1:2], v[1:2], v[57:58]
	v_add_f64 v[31:32], v[31:32], v[59:60]
	v_add_f64 v[27:28], v[27:28], v[61:62]
	v_add_f64 v[29:30], v[29:30], v[63:64]
	v_add_f64 v[7:8], v[7:8], v[65:66]
	v_add_f64 v[5:6], v[5:6], v[67:68]
	v_add_f64 v[13:14], v[13:14], v[69:70]
	v_add_f64 v[3:4], v[3:4], v[71:72]
	v_add_f64 v[25:26], v[25:26], v[73:74]
	v_add_f64 v[21:22], v[21:22], v[75:76]
	v_add_f64 v[23:24], v[23:24], v[77:78]
	v_add_f64 v[19:20], v[19:20], v[79:80]
	v_add_f64 v[17:18], v[17:18], v[81:82]
	s_add_i32 s0, s13, s12
	s_delay_alu instid0(SALU_CYCLE_1)
	s_and_b32 s12, s0, 0xfff
	s_cmp_lg_u32 s14, 0
	s_cbranch_scc0 .LBB238_4
.LBB238_2:                              ; =>This Inner Loop Header: Depth=1
	s_waitcnt vmcnt(0)
	v_dual_mov_b32 v34, v16 :: v_dual_mov_b32 v33, v15
	s_mov_b32 s0, exec_lo
	ds_store_b64 v35, v[11:12] offset:2048
	s_waitcnt lgkmcnt(0)
	s_barrier
	buffer_gl0_inv
	v_cmpx_gt_u32_e64 s12, v51
	s_cbranch_execz .LBB238_1
; %bb.3:                                ;   in Loop: Header=BB238_2 Depth=1
	ds_load_b64 v[33:34], v52 offset:8
	s_waitcnt lgkmcnt(0)
	v_add_f64 v[33:34], v[15:16], -v[33:34]
	s_branch .LBB238_1
.LBB238_4:
	v_lshlrev_b32_e32 v0, 3, v0
	s_add_u32 s0, s10, s8
	s_addc_u32 s1, s11, s9
	s_delay_alu instid0(VALU_DEP_1) | instskip(NEXT) | instid1(VALU_DEP_1)
	v_add_co_u32 v39, s2, s0, v0
	v_add_co_ci_u32_e64 v40, null, s1, 0, s2
	s_delay_alu instid0(VALU_DEP_2) | instskip(NEXT) | instid1(VALU_DEP_2)
	v_add_co_u32 v33, vcc_lo, 0x1000, v39
	v_add_co_ci_u32_e32 v34, vcc_lo, 0, v40, vcc_lo
	v_add_co_u32 v35, vcc_lo, v39, 0x2000
	v_add_co_ci_u32_e32 v36, vcc_lo, 0, v40, vcc_lo
	v_add_co_u32 v37, vcc_lo, 0x2000, v39
	v_add_co_ci_u32_e32 v38, vcc_lo, 0, v40, vcc_lo
	s_clause 0x4
	global_store_b64 v[35:36], v[27:28], off
	global_store_b64 v0, v[11:12], s[0:1]
	global_store_b64 v0, v[9:10], s[0:1] offset:2048
	global_store_b64 v[33:34], v[31:32], off offset:2048
	global_store_b64 v[37:38], v[29:30], off offset:2048
	v_add_co_u32 v9, vcc_lo, 0x3000, v39
	v_add_co_ci_u32_e32 v10, vcc_lo, 0, v40, vcc_lo
	v_add_co_u32 v11, vcc_lo, v39, 0x4000
	v_add_co_ci_u32_e32 v12, vcc_lo, 0, v40, vcc_lo
	;; [unrolled: 2-line block ×6, first 2 shown]
	s_clause 0x3
	global_store_b64 v[11:12], v[7:8], off offset:-4096
	global_store_b64 v[11:12], v[13:14], off
	global_store_b64 v[31:32], v[25:26], off offset:-4096
	global_store_b64 v[31:32], v[23:24], off
	v_add_co_u32 v7, vcc_lo, 0x7000, v39
	v_add_co_ci_u32_e32 v8, vcc_lo, 0, v40, vcc_lo
	s_clause 0x6
	global_store_b64 v[9:10], v[5:6], off offset:2048
	global_store_b64 v[27:28], v[3:4], off offset:2048
	;; [unrolled: 1-line block ×4, first 2 shown]
	global_store_b64 v[7:8], v[17:18], off
	global_store_b64 v[35:36], v[1:2], off offset:-4096
	global_store_b64 v[7:8], v[15:16], off offset:2048
	s_nop 0
	s_sendmsg sendmsg(MSG_DEALLOC_VGPRS)
	s_endpgm
	.section	.rodata,"a",@progbits
	.p2align	6, 0x0
	.amdhsa_kernel _Z6kernelI27subtract_right_partial_tileLj256ELj16ELb1EJPdPiS1_jEEvDpT3_
		.amdhsa_group_segment_fixed_size 4096
		.amdhsa_private_segment_fixed_size 0
		.amdhsa_kernarg_size 28
		.amdhsa_user_sgpr_count 15
		.amdhsa_user_sgpr_dispatch_ptr 0
		.amdhsa_user_sgpr_queue_ptr 0
		.amdhsa_user_sgpr_kernarg_segment_ptr 1
		.amdhsa_user_sgpr_dispatch_id 0
		.amdhsa_user_sgpr_private_segment_size 0
		.amdhsa_wavefront_size32 1
		.amdhsa_uses_dynamic_stack 0
		.amdhsa_enable_private_segment 0
		.amdhsa_system_sgpr_workgroup_id_x 1
		.amdhsa_system_sgpr_workgroup_id_y 0
		.amdhsa_system_sgpr_workgroup_id_z 0
		.amdhsa_system_sgpr_workgroup_info 0
		.amdhsa_system_vgpr_workitem_id 0
		.amdhsa_next_free_vgpr 83
		.amdhsa_next_free_sgpr 16
		.amdhsa_reserve_vcc 1
		.amdhsa_float_round_mode_32 0
		.amdhsa_float_round_mode_16_64 0
		.amdhsa_float_denorm_mode_32 3
		.amdhsa_float_denorm_mode_16_64 3
		.amdhsa_dx10_clamp 1
		.amdhsa_ieee_mode 1
		.amdhsa_fp16_overflow 0
		.amdhsa_workgroup_processor_mode 1
		.amdhsa_memory_ordered 1
		.amdhsa_forward_progress 0
		.amdhsa_shared_vgpr_count 0
		.amdhsa_exception_fp_ieee_invalid_op 0
		.amdhsa_exception_fp_denorm_src 0
		.amdhsa_exception_fp_ieee_div_zero 0
		.amdhsa_exception_fp_ieee_overflow 0
		.amdhsa_exception_fp_ieee_underflow 0
		.amdhsa_exception_fp_ieee_inexact 0
		.amdhsa_exception_int_div_zero 0
	.end_amdhsa_kernel
	.section	.text._Z6kernelI27subtract_right_partial_tileLj256ELj16ELb1EJPdPiS1_jEEvDpT3_,"axG",@progbits,_Z6kernelI27subtract_right_partial_tileLj256ELj16ELb1EJPdPiS1_jEEvDpT3_,comdat
.Lfunc_end238:
	.size	_Z6kernelI27subtract_right_partial_tileLj256ELj16ELb1EJPdPiS1_jEEvDpT3_, .Lfunc_end238-_Z6kernelI27subtract_right_partial_tileLj256ELj16ELb1EJPdPiS1_jEEvDpT3_
                                        ; -- End function
	.section	.AMDGPU.csdata,"",@progbits
; Kernel info:
; codeLenInByte = 1632
; NumSgprs: 18
; NumVgprs: 83
; ScratchSize: 0
; MemoryBound: 0
; FloatMode: 240
; IeeeMode: 1
; LDSByteSize: 4096 bytes/workgroup (compile time only)
; SGPRBlocks: 2
; VGPRBlocks: 10
; NumSGPRsForWavesPerEU: 18
; NumVGPRsForWavesPerEU: 83
; Occupancy: 16
; WaveLimiterHint : 1
; COMPUTE_PGM_RSRC2:SCRATCH_EN: 0
; COMPUTE_PGM_RSRC2:USER_SGPR: 15
; COMPUTE_PGM_RSRC2:TRAP_HANDLER: 0
; COMPUTE_PGM_RSRC2:TGID_X_EN: 1
; COMPUTE_PGM_RSRC2:TGID_Y_EN: 0
; COMPUTE_PGM_RSRC2:TGID_Z_EN: 0
; COMPUTE_PGM_RSRC2:TIDIG_COMP_CNT: 0
	.section	.text._Z6kernelI27subtract_right_partial_tileLj256ELj32ELb1EJPdPiS1_jEEvDpT3_,"axG",@progbits,_Z6kernelI27subtract_right_partial_tileLj256ELj32ELb1EJPdPiS1_jEEvDpT3_,comdat
	.protected	_Z6kernelI27subtract_right_partial_tileLj256ELj32ELb1EJPdPiS1_jEEvDpT3_ ; -- Begin function _Z6kernelI27subtract_right_partial_tileLj256ELj32ELb1EJPdPiS1_jEEvDpT3_
	.globl	_Z6kernelI27subtract_right_partial_tileLj256ELj32ELb1EJPdPiS1_jEEvDpT3_
	.p2align	8
	.type	_Z6kernelI27subtract_right_partial_tileLj256ELj32ELb1EJPdPiS1_jEEvDpT3_,@function
_Z6kernelI27subtract_right_partial_tileLj256ELj32ELb1EJPdPiS1_jEEvDpT3_: ; @_Z6kernelI27subtract_right_partial_tileLj256ELj32ELb1EJPdPiS1_jEEvDpT3_
; %bb.0:
	s_clause 0x1
	s_load_b128 s[4:7], s[0:1], 0x0
	s_load_b64 s[10:11], s[0:1], 0x10
	s_mov_b32 s13, 0
	s_lshl_b32 s12, s15, 13
	v_lshlrev_b32_e32 v67, 3, v0
	s_lshl_b64 s[8:9], s[12:13], 3
	s_mov_b32 s2, s15
	s_delay_alu instid0(VALU_DEP_1) | instskip(SKIP_4) | instid1(VALU_DEP_1)
	v_or_b32_e32 v100, 0x800, v67
	s_waitcnt lgkmcnt(0)
	s_add_u32 s4, s4, s8
	s_addc_u32 s5, s5, s9
	v_add_co_u32 v49, s3, s4, v67
	v_add_co_ci_u32_e64 v50, null, s5, 0, s3
	s_mov_b32 s3, s13
	s_delay_alu instid0(VALU_DEP_2) | instskip(NEXT) | instid1(VALU_DEP_2)
	v_add_co_u32 v3, vcc_lo, 0x1000, v49
	v_add_co_ci_u32_e32 v4, vcc_lo, 0, v50, vcc_lo
	v_add_co_u32 v5, vcc_lo, v49, 0x2000
	v_add_co_ci_u32_e32 v6, vcc_lo, 0, v50, vcc_lo
	v_add_co_u32 v7, vcc_lo, 0x2000, v49
	v_add_co_ci_u32_e32 v8, vcc_lo, 0, v50, vcc_lo
	v_add_co_u32 v9, vcc_lo, 0x3000, v49
	v_add_co_ci_u32_e32 v10, vcc_lo, 0, v50, vcc_lo
	v_add_co_u32 v11, vcc_lo, v49, 0x4000
	v_add_co_ci_u32_e32 v12, vcc_lo, 0, v50, vcc_lo
	v_add_co_u32 v15, vcc_lo, 0x4000, v49
	v_add_co_ci_u32_e32 v16, vcc_lo, 0, v50, vcc_lo
	s_clause 0x7
	global_load_b64 v[1:2], v[5:6], off offset:-4096
	global_load_b64 v[21:22], v[5:6], off
	global_load_b64 v[13:14], v[11:12], off offset:-4096
	global_load_b64 v[17:18], v[11:12], off
	global_load_b64 v[31:32], v[3:4], off offset:2048
	global_load_b64 v[29:30], v[7:8], off offset:2048
	global_load_b64 v[11:12], v[9:10], off offset:2048
	global_load_b64 v[9:10], v[15:16], off offset:2048
	v_add_co_u32 v3, vcc_lo, 0x5000, v49
	v_add_co_ci_u32_e32 v4, vcc_lo, 0, v50, vcc_lo
	v_add_co_u32 v5, vcc_lo, v49, 0x6000
	v_add_co_ci_u32_e32 v6, vcc_lo, 0, v50, vcc_lo
	v_add_co_u32 v23, vcc_lo, 0x6000, v49
	v_add_co_ci_u32_e32 v24, vcc_lo, 0, v50, vcc_lo
	v_add_co_u32 v33, vcc_lo, 0x7000, v49
	v_add_co_ci_u32_e32 v34, vcc_lo, 0, v50, vcc_lo
	v_add_co_u32 v15, vcc_lo, v49, 0x8000
	v_add_co_ci_u32_e32 v16, vcc_lo, 0, v50, vcc_lo
	v_add_co_u32 v35, vcc_lo, 0x8000, v49
	v_add_co_ci_u32_e32 v36, vcc_lo, 0, v50, vcc_lo
	s_clause 0x7
	global_load_b64 v[27:28], v[5:6], off offset:-4096
	global_load_b64 v[19:20], v[5:6], off
	global_load_b64 v[7:8], v[15:16], off offset:-4096
	global_load_b64 v[15:16], v[15:16], off
	global_load_b64 v[25:26], v[3:4], off offset:2048
	global_load_b64 v[23:24], v[23:24], off offset:2048
	global_load_b64 v[5:6], v[33:34], off offset:2048
	global_load_b64 v[3:4], v[35:36], off offset:2048
	;; [unrolled: 21-line block ×3, first 2 shown]
	v_add_co_u32 v41, vcc_lo, 0xd000, v49
	v_add_co_ci_u32_e32 v42, vcc_lo, 0, v50, vcc_lo
	v_add_co_u32 v43, vcc_lo, v49, 0xe000
	v_add_co_ci_u32_e32 v44, vcc_lo, 0, v50, vcc_lo
	;; [unrolled: 2-line block ×4, first 2 shown]
	s_clause 0x7
	global_load_b64 v[51:52], v[43:44], off offset:-4096
	global_load_b64 v[45:46], v[43:44], off
	global_load_b64 v[49:50], v[41:42], off offset:2048
	global_load_b64 v[47:48], v[47:48], off offset:2048
	global_load_b64 v[43:44], v[61:62], off
	global_load_b64 v[41:42], v[61:62], off offset:2048
	global_load_b64 v[63:64], v67, s[4:5]
	global_load_b64 v[61:62], v67, s[4:5] offset:2048
	s_load_b32 s4, s[0:1], 0x18
	s_lshl_b64 s[0:1], s[2:3], 2
	s_delay_alu instid0(SALU_CYCLE_1) | instskip(SKIP_4) | instid1(VALU_DEP_1)
	s_add_u32 s0, s6, s0
	s_addc_u32 s1, s7, s1
	s_waitcnt lgkmcnt(0)
	v_cvt_f32_u32_e32 v65, s4
	s_sub_i32 s3, 0, s4
	v_rcp_iflag_f32_e32 v65, v65
	s_waitcnt_depctr 0xfff
	v_mul_f32_e32 v65, 0x4f7ffffe, v65
	s_delay_alu instid0(VALU_DEP_1) | instskip(NEXT) | instid1(VALU_DEP_1)
	v_cvt_u32_f32_e32 v65, v65
	v_readfirstlane_b32 s2, v65
	v_lshlrev_b32_e32 v65, 5, v0
	s_delay_alu instid0(VALU_DEP_2) | instskip(NEXT) | instid1(VALU_DEP_1)
	s_mul_i32 s3, s3, s2
	v_or_b32_e32 v68, 1, v65
	s_mul_hi_u32 s3, s2, s3
	v_or_b32_e32 v69, 2, v65
	s_add_i32 s2, s2, s3
	v_or_b32_e32 v70, 3, v65
	s_lshr_b32 s2, s2, 19
	v_or_b32_e32 v71, 4, v65
	s_mul_i32 s3, s2, s4
	s_add_i32 s5, s2, 1
	s_sub_i32 s3, 0x2000, s3
	v_or_b32_e32 v72, 5, v65
	s_sub_i32 s6, s3, s4
	s_cmp_ge_u32 s3, s4
	v_or_b32_e32 v73, 6, v65
	s_cselect_b32 s3, s6, s3
	s_load_b32 s6, s[0:1], 0x0
	s_cselect_b32 s2, s5, s2
	v_or_b32_e32 v74, 7, v65
	s_add_i32 s5, s2, 1
	s_cmp_ge_u32 s3, s4
	v_or_b32_e32 v75, 8, v65
	v_or_b32_e32 v76, 9, v65
	;; [unrolled: 1-line block ×24, first 2 shown]
	v_add_nc_u32_e32 v99, 32, v65
	s_cselect_b32 s7, s5, s2
	s_max_u32 s12, s4, 1
	s_add_i32 s7, s7, 1
	s_branch .LBB239_2
.LBB239_1:                              ;   in Loop: Header=BB239_2 Depth=1
	s_or_b32 exec_lo, exec_lo, s0
	v_add_f64 v[103:104], v[61:62], -v[1:2]
	v_add_f64 v[105:106], v[1:2], -v[31:32]
	;; [unrolled: 1-line block ×13, first 2 shown]
	v_cmp_gt_u32_e32 vcc_lo, s6, v69
	v_add_f64 v[141:142], v[53:54], -v[55:56]
	v_add_f64 v[143:144], v[55:56], -v[39:40]
	v_cmp_gt_u32_e64 s0, s6, v70
	v_add_f64 v[107:108], v[31:32], -v[21:22]
	v_add_f64 v[145:146], v[39:40], -v[35:36]
	;; [unrolled: 1-line block ×16, first 2 shown]
	v_cmp_gt_u32_e64 s1, s6, v71
	v_cmp_gt_u32_e64 s2, s6, v72
	;; [unrolled: 1-line block ×5, first 2 shown]
	v_dual_cndmask_b32 v104, v62, v104 :: v_dual_cndmask_b32 v103, v61, v103
	v_cmp_gt_u32_e32 vcc_lo, s6, v75
	v_cndmask_b32_e64 v106, v2, v106, s0
	v_cndmask_b32_e64 v105, v1, v105, s0
	v_cmp_gt_u32_e64 s0, s6, v76
	v_add_f64 v[61:62], v[61:62], v[103:104]
	v_dual_cndmask_b32 v116, v12, v116 :: v_dual_cndmask_b32 v115, v11, v115
	v_cmp_gt_u32_e32 vcc_lo, s6, v78
	s_delay_alu instid0(VALU_DEP_4)
	v_cndmask_b32_e64 v118, v18, v118, s0
	v_cndmask_b32_e64 v117, v17, v117, s0
	v_cmp_gt_u32_e64 s0, s6, v79
	v_add_f64 v[1:2], v[1:2], v[105:106]
	v_dual_cndmask_b32 v122, v28, v122 :: v_dual_cndmask_b32 v121, v27, v121
	v_cmp_gt_u32_e32 vcc_lo, s6, v80
	s_delay_alu instid0(VALU_DEP_4)
	v_cndmask_b32_e64 v124, v26, v124, s0
	v_cndmask_b32_e64 v123, v25, v123, s0
	v_cmp_gt_u32_e64 s0, s6, v81
	v_cndmask_b32_e64 v108, v32, v108, s1
	v_dual_cndmask_b32 v126, v20, v126 :: v_dual_cndmask_b32 v125, v19, v125
	v_cmp_gt_u32_e32 vcc_lo, s6, v82
	s_delay_alu instid0(VALU_DEP_4)
	v_cndmask_b32_e64 v128, v24, v128, s0
	v_cndmask_b32_e64 v127, v23, v127, s0
	v_cmp_gt_u32_e64 s0, s6, v84
	v_cndmask_b32_e64 v107, v31, v107, s1
	v_dual_cndmask_b32 v130, v8, v130 :: v_dual_cndmask_b32 v129, v7, v129
	v_cmp_gt_u32_e32 vcc_lo, s6, v85
	s_delay_alu instid0(VALU_DEP_4)
	v_cndmask_b32_e64 v134, v16, v134, s0
	v_cndmask_b32_e64 v133, v15, v133, s0
	v_cmp_gt_u32_e64 s0, s6, v86
	v_cmp_gt_u32_e64 s1, s6, v77
	v_dual_cndmask_b32 v136, v4, v136 :: v_dual_cndmask_b32 v135, v3, v135
	v_cmp_gt_u32_e32 vcc_lo, s6, v87
	s_delay_alu instid0(VALU_DEP_4)
	v_cndmask_b32_e64 v138, v60, v138, s0
	v_cndmask_b32_e64 v137, v59, v137, s0
	v_cmp_gt_u32_e64 s0, s6, v88
	v_cndmask_b32_e64 v120, v10, v120, s1
	v_dual_cndmask_b32 v140, v58, v140 :: v_dual_cndmask_b32 v139, v57, v139
	v_cmp_gt_u32_e32 vcc_lo, s6, v89
	s_delay_alu instid0(VALU_DEP_4)
	v_cndmask_b32_e64 v142, v54, v142, s0
	v_cndmask_b32_e64 v141, v53, v141, s0
	v_cmp_gt_u32_e64 s0, s6, v90
	v_cndmask_b32_e64 v119, v9, v119, s1
	v_dual_cndmask_b32 v144, v56, v144 :: v_dual_cndmask_b32 v143, v55, v143
	v_cmp_gt_u32_e32 vcc_lo, s6, v91
	s_delay_alu instid0(VALU_DEP_4)
	v_cndmask_b32_e64 v146, v40, v146, s0
	v_cndmask_b32_e64 v145, v39, v145, s0
	v_cmp_gt_u32_e64 s0, s6, v92
	v_cmp_gt_u32_e64 s1, s6, v83
	v_dual_cndmask_b32 v148, v36, v148 :: v_dual_cndmask_b32 v147, v35, v147
	v_cmp_gt_u32_e32 vcc_lo, s6, v93
	s_delay_alu instid0(VALU_DEP_4)
	v_cndmask_b32_e64 v150, v38, v150, s0
	v_cndmask_b32_e64 v149, v37, v149, s0
	v_cmp_gt_u32_e64 s0, s6, v94
	v_cndmask_b32_e64 v132, v6, v132, s1
	v_dual_cndmask_b32 v152, v34, v152 :: v_dual_cndmask_b32 v151, v33, v151
	v_cmp_gt_u32_e32 vcc_lo, s6, v95
	v_cndmask_b32_e64 v131, v5, v131, s1
	v_cndmask_b32_e64 v154, v52, v154, s0
	;; [unrolled: 1-line block ×3, first 2 shown]
	v_cmp_gt_u32_e64 s0, s6, v96
	v_dual_cndmask_b32 v156, v50, v156 :: v_dual_cndmask_b32 v155, v49, v155
	v_cmp_gt_u32_e32 vcc_lo, s6, v97
	v_cmp_gt_u32_e64 s1, s6, v98
	v_cndmask_b32_e64 v102, v64, v102, s5
	v_cndmask_b32_e64 v101, v63, v101, s5
	;; [unrolled: 1-line block ×10, first 2 shown]
	v_dual_cndmask_b32 v160, v48, v160 :: v_dual_cndmask_b32 v159, v47, v159
	v_cndmask_b32_e64 v162, v44, v162, s1
	v_cndmask_b32_e64 v161, v43, v161, s1
	v_add_f64 v[63:64], v[63:64], v[101:102]
	v_add_f64 v[31:32], v[31:32], v[107:108]
	;; [unrolled: 1-line block ×30, first 2 shown]
	s_add_i32 s0, s7, s6
	s_add_i32 s12, s12, -1
	s_and_b32 s6, s0, 0x1fff
	s_cmp_lg_u32 s12, 0
	s_barrier
	buffer_gl0_inv
	s_cbranch_scc0 .LBB239_4
.LBB239_2:                              ; =>This Inner Loop Header: Depth=1
	s_waitcnt vmcnt(2)
	v_dual_mov_b32 v66, v42 :: v_dual_mov_b32 v65, v41
	s_mov_b32 s0, exec_lo
	s_waitcnt vmcnt(1)
	ds_store_b64 v67, v[63:64] offset:2048
	s_waitcnt vmcnt(0) lgkmcnt(0)
	s_barrier
	buffer_gl0_inv
	v_cmpx_gt_u32_e64 s6, v99
	s_cbranch_execz .LBB239_1
; %bb.3:                                ;   in Loop: Header=BB239_2 Depth=1
	ds_load_b64 v[65:66], v100 offset:8
	s_waitcnt lgkmcnt(0)
	v_add_f64 v[65:66], v[41:42], -v[65:66]
	s_branch .LBB239_1
.LBB239_4:
	v_lshlrev_b32_e32 v0, 3, v0
	s_add_u32 s0, s10, s8
	s_addc_u32 s1, s11, s9
	s_delay_alu instid0(VALU_DEP_1) | instskip(NEXT) | instid1(VALU_DEP_1)
	v_add_co_u32 v71, s2, s0, v0
	v_add_co_ci_u32_e64 v72, null, s1, 0, s2
	s_delay_alu instid0(VALU_DEP_2) | instskip(NEXT) | instid1(VALU_DEP_2)
	v_add_co_u32 v65, vcc_lo, 0x1000, v71
	v_add_co_ci_u32_e32 v66, vcc_lo, 0, v72, vcc_lo
	v_add_co_u32 v67, vcc_lo, v71, 0x2000
	v_add_co_ci_u32_e32 v68, vcc_lo, 0, v72, vcc_lo
	;; [unrolled: 2-line block ×3, first 2 shown]
	s_clause 0x4
	global_store_b64 v[67:68], v[21:22], off
	global_store_b64 v0, v[63:64], s[0:1]
	global_store_b64 v0, v[61:62], s[0:1] offset:2048
	global_store_b64 v[65:66], v[31:32], off offset:2048
	global_store_b64 v[69:70], v[29:30], off offset:2048
	v_add_co_u32 v21, vcc_lo, 0x3000, v71
	v_add_co_ci_u32_e32 v22, vcc_lo, 0, v72, vcc_lo
	v_add_co_u32 v29, vcc_lo, v71, 0x4000
	v_add_co_ci_u32_e32 v30, vcc_lo, 0, v72, vcc_lo
	v_add_co_u32 v31, vcc_lo, 0x4000, v71
	v_add_co_ci_u32_e32 v32, vcc_lo, 0, v72, vcc_lo
	v_add_co_u32 v61, vcc_lo, 0x5000, v71
	v_add_co_ci_u32_e32 v62, vcc_lo, 0, v72, vcc_lo
	v_add_co_u32 v63, vcc_lo, v71, 0x6000
	v_add_co_ci_u32_e32 v64, vcc_lo, 0, v72, vcc_lo
	v_add_co_u32 v65, vcc_lo, 0x6000, v71
	v_add_co_ci_u32_e32 v66, vcc_lo, 0, v72, vcc_lo
	s_clause 0x7
	global_store_b64 v[29:30], v[13:14], off offset:-4096
	global_store_b64 v[29:30], v[17:18], off
	global_store_b64 v[63:64], v[27:28], off offset:-4096
	global_store_b64 v[63:64], v[19:20], off
	global_store_b64 v[21:22], v[11:12], off offset:2048
	global_store_b64 v[31:32], v[9:10], off offset:2048
	;; [unrolled: 1-line block ×4, first 2 shown]
	v_add_co_u32 v9, vcc_lo, 0x7000, v71
	v_add_co_ci_u32_e32 v10, vcc_lo, 0, v72, vcc_lo
	v_add_co_u32 v11, vcc_lo, v71, 0x8000
	v_add_co_ci_u32_e32 v12, vcc_lo, 0, v72, vcc_lo
	;; [unrolled: 2-line block ×6, first 2 shown]
	s_clause 0x7
	global_store_b64 v[11:12], v[7:8], off offset:-4096
	global_store_b64 v[11:12], v[15:16], off
	global_store_b64 v[19:20], v[59:60], off offset:-4096
	global_store_b64 v[19:20], v[53:54], off
	global_store_b64 v[9:10], v[5:6], off offset:2048
	global_store_b64 v[13:14], v[3:4], off offset:2048
	;; [unrolled: 1-line block ×4, first 2 shown]
	v_add_co_u32 v3, vcc_lo, 0xb000, v71
	v_add_co_ci_u32_e32 v4, vcc_lo, 0, v72, vcc_lo
	v_add_co_u32 v5, vcc_lo, v71, 0xc000
	v_add_co_ci_u32_e32 v6, vcc_lo, 0, v72, vcc_lo
	;; [unrolled: 2-line block ×6, first 2 shown]
	s_clause 0x3
	global_store_b64 v[5:6], v[39:40], off offset:-4096
	global_store_b64 v[5:6], v[37:38], off
	global_store_b64 v[11:12], v[51:52], off offset:-4096
	global_store_b64 v[11:12], v[45:46], off
	v_add_co_u32 v5, vcc_lo, 0xf000, v71
	v_add_co_ci_u32_e32 v6, vcc_lo, 0, v72, vcc_lo
	s_clause 0x6
	global_store_b64 v[3:4], v[35:36], off offset:2048
	global_store_b64 v[7:8], v[33:34], off offset:2048
	;; [unrolled: 1-line block ×4, first 2 shown]
	global_store_b64 v[5:6], v[43:44], off
	global_store_b64 v[67:68], v[1:2], off offset:-4096
	global_store_b64 v[5:6], v[41:42], off offset:2048
	s_nop 0
	s_sendmsg sendmsg(MSG_DEALLOC_VGPRS)
	s_endpgm
	.section	.rodata,"a",@progbits
	.p2align	6, 0x0
	.amdhsa_kernel _Z6kernelI27subtract_right_partial_tileLj256ELj32ELb1EJPdPiS1_jEEvDpT3_
		.amdhsa_group_segment_fixed_size 4096
		.amdhsa_private_segment_fixed_size 0
		.amdhsa_kernarg_size 28
		.amdhsa_user_sgpr_count 15
		.amdhsa_user_sgpr_dispatch_ptr 0
		.amdhsa_user_sgpr_queue_ptr 0
		.amdhsa_user_sgpr_kernarg_segment_ptr 1
		.amdhsa_user_sgpr_dispatch_id 0
		.amdhsa_user_sgpr_private_segment_size 0
		.amdhsa_wavefront_size32 1
		.amdhsa_uses_dynamic_stack 0
		.amdhsa_enable_private_segment 0
		.amdhsa_system_sgpr_workgroup_id_x 1
		.amdhsa_system_sgpr_workgroup_id_y 0
		.amdhsa_system_sgpr_workgroup_id_z 0
		.amdhsa_system_sgpr_workgroup_info 0
		.amdhsa_system_vgpr_workitem_id 0
		.amdhsa_next_free_vgpr 163
		.amdhsa_next_free_sgpr 16
		.amdhsa_reserve_vcc 1
		.amdhsa_float_round_mode_32 0
		.amdhsa_float_round_mode_16_64 0
		.amdhsa_float_denorm_mode_32 3
		.amdhsa_float_denorm_mode_16_64 3
		.amdhsa_dx10_clamp 1
		.amdhsa_ieee_mode 1
		.amdhsa_fp16_overflow 0
		.amdhsa_workgroup_processor_mode 1
		.amdhsa_memory_ordered 1
		.amdhsa_forward_progress 0
		.amdhsa_shared_vgpr_count 0
		.amdhsa_exception_fp_ieee_invalid_op 0
		.amdhsa_exception_fp_denorm_src 0
		.amdhsa_exception_fp_ieee_div_zero 0
		.amdhsa_exception_fp_ieee_overflow 0
		.amdhsa_exception_fp_ieee_underflow 0
		.amdhsa_exception_fp_ieee_inexact 0
		.amdhsa_exception_int_div_zero 0
	.end_amdhsa_kernel
	.section	.text._Z6kernelI27subtract_right_partial_tileLj256ELj32ELb1EJPdPiS1_jEEvDpT3_,"axG",@progbits,_Z6kernelI27subtract_right_partial_tileLj256ELj32ELb1EJPdPiS1_jEEvDpT3_,comdat
.Lfunc_end239:
	.size	_Z6kernelI27subtract_right_partial_tileLj256ELj32ELb1EJPdPiS1_jEEvDpT3_, .Lfunc_end239-_Z6kernelI27subtract_right_partial_tileLj256ELj32ELb1EJPdPiS1_jEEvDpT3_
                                        ; -- End function
	.section	.AMDGPU.csdata,"",@progbits
; Kernel info:
; codeLenInByte = 2924
; NumSgprs: 18
; NumVgprs: 163
; ScratchSize: 0
; MemoryBound: 0
; FloatMode: 240
; IeeeMode: 1
; LDSByteSize: 4096 bytes/workgroup (compile time only)
; SGPRBlocks: 2
; VGPRBlocks: 20
; NumSGPRsForWavesPerEU: 18
; NumVGPRsForWavesPerEU: 163
; Occupancy: 9
; WaveLimiterHint : 1
; COMPUTE_PGM_RSRC2:SCRATCH_EN: 0
; COMPUTE_PGM_RSRC2:USER_SGPR: 15
; COMPUTE_PGM_RSRC2:TRAP_HANDLER: 0
; COMPUTE_PGM_RSRC2:TGID_X_EN: 1
; COMPUTE_PGM_RSRC2:TGID_Y_EN: 0
; COMPUTE_PGM_RSRC2:TGID_Z_EN: 0
; COMPUTE_PGM_RSRC2:TIDIG_COMP_CNT: 0
	.text
	.p2alignl 7, 3214868480
	.fill 96, 4, 3214868480
	.type	__hip_cuid_31f09d3834cea863,@object ; @__hip_cuid_31f09d3834cea863
	.section	.bss,"aw",@nobits
	.globl	__hip_cuid_31f09d3834cea863
__hip_cuid_31f09d3834cea863:
	.byte	0                               ; 0x0
	.size	__hip_cuid_31f09d3834cea863, 1

	.ident	"AMD clang version 19.0.0git (https://github.com/RadeonOpenCompute/llvm-project roc-6.4.0 25133 c7fe45cf4b819c5991fe208aaa96edf142730f1d)"
	.section	".note.GNU-stack","",@progbits
	.addrsig
	.addrsig_sym __hip_cuid_31f09d3834cea863
	.amdgpu_metadata
---
amdhsa.kernels:
  - .args:
      - .address_space:  global
        .offset:         0
        .size:           8
        .value_kind:     global_buffer
      - .address_space:  global
        .offset:         8
        .size:           8
        .value_kind:     global_buffer
      - .offset:         16
        .size:           4
        .value_kind:     by_value
    .group_segment_fixed_size: 2048
    .kernarg_segment_align: 8
    .kernarg_segment_size: 20
    .language:       OpenCL C
    .language_version:
      - 2
      - 0
    .max_flat_workgroup_size: 256
    .name:           _Z6kernelI13subtract_leftLj256ELj1ELb0EJPiS1_jEEvDpT3_
    .private_segment_fixed_size: 0
    .sgpr_count:     18
    .sgpr_spill_count: 0
    .symbol:         _Z6kernelI13subtract_leftLj256ELj1ELb0EJPiS1_jEEvDpT3_.kd
    .uniform_work_group_size: 1
    .uses_dynamic_stack: false
    .vgpr_count:     4
    .vgpr_spill_count: 0
    .wavefront_size: 32
    .workgroup_processor_mode: 1
  - .args:
      - .address_space:  global
        .offset:         0
        .size:           8
        .value_kind:     global_buffer
      - .address_space:  global
        .offset:         8
        .size:           8
        .value_kind:     global_buffer
      - .offset:         16
        .size:           4
        .value_kind:     by_value
    .group_segment_fixed_size: 2048
    .kernarg_segment_align: 8
    .kernarg_segment_size: 20
    .language:       OpenCL C
    .language_version:
      - 2
      - 0
    .max_flat_workgroup_size: 256
    .name:           _Z6kernelI13subtract_leftLj256ELj3ELb0EJPiS1_jEEvDpT3_
    .private_segment_fixed_size: 0
    .sgpr_count:     18
    .sgpr_spill_count: 0
    .symbol:         _Z6kernelI13subtract_leftLj256ELj3ELb0EJPiS1_jEEvDpT3_.kd
    .uniform_work_group_size: 1
    .uses_dynamic_stack: false
    .vgpr_count:     8
    .vgpr_spill_count: 0
    .wavefront_size: 32
    .workgroup_processor_mode: 1
  - .args:
      - .address_space:  global
        .offset:         0
        .size:           8
        .value_kind:     global_buffer
      - .address_space:  global
        .offset:         8
        .size:           8
        .value_kind:     global_buffer
      - .offset:         16
        .size:           4
        .value_kind:     by_value
    .group_segment_fixed_size: 2048
    .kernarg_segment_align: 8
    .kernarg_segment_size: 20
    .language:       OpenCL C
    .language_version:
      - 2
      - 0
    .max_flat_workgroup_size: 256
    .name:           _Z6kernelI13subtract_leftLj256ELj4ELb0EJPiS1_jEEvDpT3_
    .private_segment_fixed_size: 0
    .sgpr_count:     18
    .sgpr_spill_count: 0
    .symbol:         _Z6kernelI13subtract_leftLj256ELj4ELb0EJPiS1_jEEvDpT3_.kd
    .uniform_work_group_size: 1
    .uses_dynamic_stack: false
    .vgpr_count:     10
    .vgpr_spill_count: 0
    .wavefront_size: 32
    .workgroup_processor_mode: 1
  - .args:
      - .address_space:  global
        .offset:         0
        .size:           8
        .value_kind:     global_buffer
      - .address_space:  global
        .offset:         8
        .size:           8
        .value_kind:     global_buffer
      - .offset:         16
        .size:           4
        .value_kind:     by_value
    .group_segment_fixed_size: 2048
    .kernarg_segment_align: 8
    .kernarg_segment_size: 20
    .language:       OpenCL C
    .language_version:
      - 2
      - 0
    .max_flat_workgroup_size: 256
    .name:           _Z6kernelI13subtract_leftLj256ELj8ELb0EJPiS1_jEEvDpT3_
    .private_segment_fixed_size: 0
    .sgpr_count:     18
    .sgpr_spill_count: 0
    .symbol:         _Z6kernelI13subtract_leftLj256ELj8ELb0EJPiS1_jEEvDpT3_.kd
    .uniform_work_group_size: 1
    .uses_dynamic_stack: false
    .vgpr_count:     18
    .vgpr_spill_count: 0
    .wavefront_size: 32
    .workgroup_processor_mode: 1
  - .args:
      - .address_space:  global
        .offset:         0
        .size:           8
        .value_kind:     global_buffer
      - .address_space:  global
        .offset:         8
        .size:           8
        .value_kind:     global_buffer
      - .offset:         16
        .size:           4
        .value_kind:     by_value
    .group_segment_fixed_size: 2048
    .kernarg_segment_align: 8
    .kernarg_segment_size: 20
    .language:       OpenCL C
    .language_version:
      - 2
      - 0
    .max_flat_workgroup_size: 256
    .name:           _Z6kernelI13subtract_leftLj256ELj16ELb0EJPiS1_jEEvDpT3_
    .private_segment_fixed_size: 0
    .sgpr_count:     18
    .sgpr_spill_count: 0
    .symbol:         _Z6kernelI13subtract_leftLj256ELj16ELb0EJPiS1_jEEvDpT3_.kd
    .uniform_work_group_size: 1
    .uses_dynamic_stack: false
    .vgpr_count:     34
    .vgpr_spill_count: 0
    .wavefront_size: 32
    .workgroup_processor_mode: 1
  - .args:
      - .address_space:  global
        .offset:         0
        .size:           8
        .value_kind:     global_buffer
      - .address_space:  global
        .offset:         8
        .size:           8
        .value_kind:     global_buffer
      - .offset:         16
        .size:           4
        .value_kind:     by_value
    .group_segment_fixed_size: 2048
    .kernarg_segment_align: 8
    .kernarg_segment_size: 20
    .language:       OpenCL C
    .language_version:
      - 2
      - 0
    .max_flat_workgroup_size: 256
    .name:           _Z6kernelI13subtract_leftLj256ELj32ELb0EJPiS1_jEEvDpT3_
    .private_segment_fixed_size: 0
    .sgpr_count:     18
    .sgpr_spill_count: 0
    .symbol:         _Z6kernelI13subtract_leftLj256ELj32ELb0EJPiS1_jEEvDpT3_.kd
    .uniform_work_group_size: 1
    .uses_dynamic_stack: false
    .vgpr_count:     66
    .vgpr_spill_count: 0
    .wavefront_size: 32
    .workgroup_processor_mode: 1
  - .args:
      - .address_space:  global
        .offset:         0
        .size:           8
        .value_kind:     global_buffer
      - .address_space:  global
        .offset:         8
        .size:           8
        .value_kind:     global_buffer
      - .offset:         16
        .size:           4
        .value_kind:     by_value
    .group_segment_fixed_size: 2048
    .kernarg_segment_align: 8
    .kernarg_segment_size: 20
    .language:       OpenCL C
    .language_version:
      - 2
      - 0
    .max_flat_workgroup_size: 256
    .name:           _Z6kernelI13subtract_leftLj256ELj1ELb0EJPfS1_jEEvDpT3_
    .private_segment_fixed_size: 0
    .sgpr_count:     18
    .sgpr_spill_count: 0
    .symbol:         _Z6kernelI13subtract_leftLj256ELj1ELb0EJPfS1_jEEvDpT3_.kd
    .uniform_work_group_size: 1
    .uses_dynamic_stack: false
    .vgpr_count:     4
    .vgpr_spill_count: 0
    .wavefront_size: 32
    .workgroup_processor_mode: 1
  - .args:
      - .address_space:  global
        .offset:         0
        .size:           8
        .value_kind:     global_buffer
      - .address_space:  global
        .offset:         8
        .size:           8
        .value_kind:     global_buffer
      - .offset:         16
        .size:           4
        .value_kind:     by_value
    .group_segment_fixed_size: 2048
    .kernarg_segment_align: 8
    .kernarg_segment_size: 20
    .language:       OpenCL C
    .language_version:
      - 2
      - 0
    .max_flat_workgroup_size: 256
    .name:           _Z6kernelI13subtract_leftLj256ELj3ELb0EJPfS1_jEEvDpT3_
    .private_segment_fixed_size: 0
    .sgpr_count:     18
    .sgpr_spill_count: 0
    .symbol:         _Z6kernelI13subtract_leftLj256ELj3ELb0EJPfS1_jEEvDpT3_.kd
    .uniform_work_group_size: 1
    .uses_dynamic_stack: false
    .vgpr_count:     8
    .vgpr_spill_count: 0
    .wavefront_size: 32
    .workgroup_processor_mode: 1
  - .args:
      - .address_space:  global
        .offset:         0
        .size:           8
        .value_kind:     global_buffer
      - .address_space:  global
        .offset:         8
        .size:           8
        .value_kind:     global_buffer
      - .offset:         16
        .size:           4
        .value_kind:     by_value
    .group_segment_fixed_size: 2048
    .kernarg_segment_align: 8
    .kernarg_segment_size: 20
    .language:       OpenCL C
    .language_version:
      - 2
      - 0
    .max_flat_workgroup_size: 256
    .name:           _Z6kernelI13subtract_leftLj256ELj4ELb0EJPfS1_jEEvDpT3_
    .private_segment_fixed_size: 0
    .sgpr_count:     18
    .sgpr_spill_count: 0
    .symbol:         _Z6kernelI13subtract_leftLj256ELj4ELb0EJPfS1_jEEvDpT3_.kd
    .uniform_work_group_size: 1
    .uses_dynamic_stack: false
    .vgpr_count:     10
    .vgpr_spill_count: 0
    .wavefront_size: 32
    .workgroup_processor_mode: 1
  - .args:
      - .address_space:  global
        .offset:         0
        .size:           8
        .value_kind:     global_buffer
      - .address_space:  global
        .offset:         8
        .size:           8
        .value_kind:     global_buffer
      - .offset:         16
        .size:           4
        .value_kind:     by_value
    .group_segment_fixed_size: 2048
    .kernarg_segment_align: 8
    .kernarg_segment_size: 20
    .language:       OpenCL C
    .language_version:
      - 2
      - 0
    .max_flat_workgroup_size: 256
    .name:           _Z6kernelI13subtract_leftLj256ELj8ELb0EJPfS1_jEEvDpT3_
    .private_segment_fixed_size: 0
    .sgpr_count:     18
    .sgpr_spill_count: 0
    .symbol:         _Z6kernelI13subtract_leftLj256ELj8ELb0EJPfS1_jEEvDpT3_.kd
    .uniform_work_group_size: 1
    .uses_dynamic_stack: false
    .vgpr_count:     18
    .vgpr_spill_count: 0
    .wavefront_size: 32
    .workgroup_processor_mode: 1
  - .args:
      - .address_space:  global
        .offset:         0
        .size:           8
        .value_kind:     global_buffer
      - .address_space:  global
        .offset:         8
        .size:           8
        .value_kind:     global_buffer
      - .offset:         16
        .size:           4
        .value_kind:     by_value
    .group_segment_fixed_size: 2048
    .kernarg_segment_align: 8
    .kernarg_segment_size: 20
    .language:       OpenCL C
    .language_version:
      - 2
      - 0
    .max_flat_workgroup_size: 256
    .name:           _Z6kernelI13subtract_leftLj256ELj16ELb0EJPfS1_jEEvDpT3_
    .private_segment_fixed_size: 0
    .sgpr_count:     18
    .sgpr_spill_count: 0
    .symbol:         _Z6kernelI13subtract_leftLj256ELj16ELb0EJPfS1_jEEvDpT3_.kd
    .uniform_work_group_size: 1
    .uses_dynamic_stack: false
    .vgpr_count:     34
    .vgpr_spill_count: 0
    .wavefront_size: 32
    .workgroup_processor_mode: 1
  - .args:
      - .address_space:  global
        .offset:         0
        .size:           8
        .value_kind:     global_buffer
      - .address_space:  global
        .offset:         8
        .size:           8
        .value_kind:     global_buffer
      - .offset:         16
        .size:           4
        .value_kind:     by_value
    .group_segment_fixed_size: 2048
    .kernarg_segment_align: 8
    .kernarg_segment_size: 20
    .language:       OpenCL C
    .language_version:
      - 2
      - 0
    .max_flat_workgroup_size: 256
    .name:           _Z6kernelI13subtract_leftLj256ELj32ELb0EJPfS1_jEEvDpT3_
    .private_segment_fixed_size: 0
    .sgpr_count:     18
    .sgpr_spill_count: 0
    .symbol:         _Z6kernelI13subtract_leftLj256ELj32ELb0EJPfS1_jEEvDpT3_.kd
    .uniform_work_group_size: 1
    .uses_dynamic_stack: false
    .vgpr_count:     66
    .vgpr_spill_count: 0
    .wavefront_size: 32
    .workgroup_processor_mode: 1
  - .args:
      - .address_space:  global
        .offset:         0
        .size:           8
        .value_kind:     global_buffer
      - .address_space:  global
        .offset:         8
        .size:           8
        .value_kind:     global_buffer
      - .offset:         16
        .size:           4
        .value_kind:     by_value
    .group_segment_fixed_size: 512
    .kernarg_segment_align: 8
    .kernarg_segment_size: 20
    .language:       OpenCL C
    .language_version:
      - 2
      - 0
    .max_flat_workgroup_size: 256
    .name:           _Z6kernelI13subtract_leftLj256ELj1ELb0EJPaS1_jEEvDpT3_
    .private_segment_fixed_size: 0
    .sgpr_count:     18
    .sgpr_spill_count: 0
    .symbol:         _Z6kernelI13subtract_leftLj256ELj1ELb0EJPaS1_jEEvDpT3_.kd
    .uniform_work_group_size: 1
    .uses_dynamic_stack: false
    .vgpr_count:     4
    .vgpr_spill_count: 0
    .wavefront_size: 32
    .workgroup_processor_mode: 1
  - .args:
      - .address_space:  global
        .offset:         0
        .size:           8
        .value_kind:     global_buffer
      - .address_space:  global
        .offset:         8
        .size:           8
        .value_kind:     global_buffer
      - .offset:         16
        .size:           4
        .value_kind:     by_value
    .group_segment_fixed_size: 512
    .kernarg_segment_align: 8
    .kernarg_segment_size: 20
    .language:       OpenCL C
    .language_version:
      - 2
      - 0
    .max_flat_workgroup_size: 256
    .name:           _Z6kernelI13subtract_leftLj256ELj3ELb0EJPaS1_jEEvDpT3_
    .private_segment_fixed_size: 0
    .sgpr_count:     18
    .sgpr_spill_count: 0
    .symbol:         _Z6kernelI13subtract_leftLj256ELj3ELb0EJPaS1_jEEvDpT3_.kd
    .uniform_work_group_size: 1
    .uses_dynamic_stack: false
    .vgpr_count:     8
    .vgpr_spill_count: 0
    .wavefront_size: 32
    .workgroup_processor_mode: 1
  - .args:
      - .address_space:  global
        .offset:         0
        .size:           8
        .value_kind:     global_buffer
      - .address_space:  global
        .offset:         8
        .size:           8
        .value_kind:     global_buffer
      - .offset:         16
        .size:           4
        .value_kind:     by_value
    .group_segment_fixed_size: 512
    .kernarg_segment_align: 8
    .kernarg_segment_size: 20
    .language:       OpenCL C
    .language_version:
      - 2
      - 0
    .max_flat_workgroup_size: 256
    .name:           _Z6kernelI13subtract_leftLj256ELj4ELb0EJPaS1_jEEvDpT3_
    .private_segment_fixed_size: 0
    .sgpr_count:     18
    .sgpr_spill_count: 0
    .symbol:         _Z6kernelI13subtract_leftLj256ELj4ELb0EJPaS1_jEEvDpT3_.kd
    .uniform_work_group_size: 1
    .uses_dynamic_stack: false
    .vgpr_count:     10
    .vgpr_spill_count: 0
    .wavefront_size: 32
    .workgroup_processor_mode: 1
  - .args:
      - .address_space:  global
        .offset:         0
        .size:           8
        .value_kind:     global_buffer
      - .address_space:  global
        .offset:         8
        .size:           8
        .value_kind:     global_buffer
      - .offset:         16
        .size:           4
        .value_kind:     by_value
    .group_segment_fixed_size: 512
    .kernarg_segment_align: 8
    .kernarg_segment_size: 20
    .language:       OpenCL C
    .language_version:
      - 2
      - 0
    .max_flat_workgroup_size: 256
    .name:           _Z6kernelI13subtract_leftLj256ELj8ELb0EJPaS1_jEEvDpT3_
    .private_segment_fixed_size: 0
    .sgpr_count:     18
    .sgpr_spill_count: 0
    .symbol:         _Z6kernelI13subtract_leftLj256ELj8ELb0EJPaS1_jEEvDpT3_.kd
    .uniform_work_group_size: 1
    .uses_dynamic_stack: false
    .vgpr_count:     18
    .vgpr_spill_count: 0
    .wavefront_size: 32
    .workgroup_processor_mode: 1
  - .args:
      - .address_space:  global
        .offset:         0
        .size:           8
        .value_kind:     global_buffer
      - .address_space:  global
        .offset:         8
        .size:           8
        .value_kind:     global_buffer
      - .offset:         16
        .size:           4
        .value_kind:     by_value
    .group_segment_fixed_size: 512
    .kernarg_segment_align: 8
    .kernarg_segment_size: 20
    .language:       OpenCL C
    .language_version:
      - 2
      - 0
    .max_flat_workgroup_size: 256
    .name:           _Z6kernelI13subtract_leftLj256ELj16ELb0EJPaS1_jEEvDpT3_
    .private_segment_fixed_size: 0
    .sgpr_count:     18
    .sgpr_spill_count: 0
    .symbol:         _Z6kernelI13subtract_leftLj256ELj16ELb0EJPaS1_jEEvDpT3_.kd
    .uniform_work_group_size: 1
    .uses_dynamic_stack: false
    .vgpr_count:     32
    .vgpr_spill_count: 0
    .wavefront_size: 32
    .workgroup_processor_mode: 1
  - .args:
      - .address_space:  global
        .offset:         0
        .size:           8
        .value_kind:     global_buffer
      - .address_space:  global
        .offset:         8
        .size:           8
        .value_kind:     global_buffer
      - .offset:         16
        .size:           4
        .value_kind:     by_value
    .group_segment_fixed_size: 512
    .kernarg_segment_align: 8
    .kernarg_segment_size: 20
    .language:       OpenCL C
    .language_version:
      - 2
      - 0
    .max_flat_workgroup_size: 256
    .name:           _Z6kernelI13subtract_leftLj256ELj32ELb0EJPaS1_jEEvDpT3_
    .private_segment_fixed_size: 0
    .sgpr_count:     18
    .sgpr_spill_count: 0
    .symbol:         _Z6kernelI13subtract_leftLj256ELj32ELb0EJPaS1_jEEvDpT3_.kd
    .uniform_work_group_size: 1
    .uses_dynamic_stack: false
    .vgpr_count:     66
    .vgpr_spill_count: 0
    .wavefront_size: 32
    .workgroup_processor_mode: 1
  - .args:
      - .address_space:  global
        .offset:         0
        .size:           8
        .value_kind:     global_buffer
      - .address_space:  global
        .offset:         8
        .size:           8
        .value_kind:     global_buffer
      - .offset:         16
        .size:           4
        .value_kind:     by_value
    .group_segment_fixed_size: 4096
    .kernarg_segment_align: 8
    .kernarg_segment_size: 20
    .language:       OpenCL C
    .language_version:
      - 2
      - 0
    .max_flat_workgroup_size: 256
    .name:           _Z6kernelI13subtract_leftLj256ELj1ELb0EJPxS1_jEEvDpT3_
    .private_segment_fixed_size: 0
    .sgpr_count:     18
    .sgpr_spill_count: 0
    .symbol:         _Z6kernelI13subtract_leftLj256ELj1ELb0EJPxS1_jEEvDpT3_.kd
    .uniform_work_group_size: 1
    .uses_dynamic_stack: false
    .vgpr_count:     6
    .vgpr_spill_count: 0
    .wavefront_size: 32
    .workgroup_processor_mode: 1
  - .args:
      - .address_space:  global
        .offset:         0
        .size:           8
        .value_kind:     global_buffer
      - .address_space:  global
        .offset:         8
        .size:           8
        .value_kind:     global_buffer
      - .offset:         16
        .size:           4
        .value_kind:     by_value
    .group_segment_fixed_size: 4096
    .kernarg_segment_align: 8
    .kernarg_segment_size: 20
    .language:       OpenCL C
    .language_version:
      - 2
      - 0
    .max_flat_workgroup_size: 256
    .name:           _Z6kernelI13subtract_leftLj256ELj3ELb0EJPxS1_jEEvDpT3_
    .private_segment_fixed_size: 0
    .sgpr_count:     18
    .sgpr_spill_count: 0
    .symbol:         _Z6kernelI13subtract_leftLj256ELj3ELb0EJPxS1_jEEvDpT3_.kd
    .uniform_work_group_size: 1
    .uses_dynamic_stack: false
    .vgpr_count:     12
    .vgpr_spill_count: 0
    .wavefront_size: 32
    .workgroup_processor_mode: 1
  - .args:
      - .address_space:  global
        .offset:         0
        .size:           8
        .value_kind:     global_buffer
      - .address_space:  global
        .offset:         8
        .size:           8
        .value_kind:     global_buffer
      - .offset:         16
        .size:           4
        .value_kind:     by_value
    .group_segment_fixed_size: 4096
    .kernarg_segment_align: 8
    .kernarg_segment_size: 20
    .language:       OpenCL C
    .language_version:
      - 2
      - 0
    .max_flat_workgroup_size: 256
    .name:           _Z6kernelI13subtract_leftLj256ELj4ELb0EJPxS1_jEEvDpT3_
    .private_segment_fixed_size: 0
    .sgpr_count:     18
    .sgpr_spill_count: 0
    .symbol:         _Z6kernelI13subtract_leftLj256ELj4ELb0EJPxS1_jEEvDpT3_.kd
    .uniform_work_group_size: 1
    .uses_dynamic_stack: false
    .vgpr_count:     16
    .vgpr_spill_count: 0
    .wavefront_size: 32
    .workgroup_processor_mode: 1
  - .args:
      - .address_space:  global
        .offset:         0
        .size:           8
        .value_kind:     global_buffer
      - .address_space:  global
        .offset:         8
        .size:           8
        .value_kind:     global_buffer
      - .offset:         16
        .size:           4
        .value_kind:     by_value
    .group_segment_fixed_size: 4096
    .kernarg_segment_align: 8
    .kernarg_segment_size: 20
    .language:       OpenCL C
    .language_version:
      - 2
      - 0
    .max_flat_workgroup_size: 256
    .name:           _Z6kernelI13subtract_leftLj256ELj8ELb0EJPxS1_jEEvDpT3_
    .private_segment_fixed_size: 0
    .sgpr_count:     18
    .sgpr_spill_count: 0
    .symbol:         _Z6kernelI13subtract_leftLj256ELj8ELb0EJPxS1_jEEvDpT3_.kd
    .uniform_work_group_size: 1
    .uses_dynamic_stack: false
    .vgpr_count:     34
    .vgpr_spill_count: 0
    .wavefront_size: 32
    .workgroup_processor_mode: 1
  - .args:
      - .address_space:  global
        .offset:         0
        .size:           8
        .value_kind:     global_buffer
      - .address_space:  global
        .offset:         8
        .size:           8
        .value_kind:     global_buffer
      - .offset:         16
        .size:           4
        .value_kind:     by_value
    .group_segment_fixed_size: 4096
    .kernarg_segment_align: 8
    .kernarg_segment_size: 20
    .language:       OpenCL C
    .language_version:
      - 2
      - 0
    .max_flat_workgroup_size: 256
    .name:           _Z6kernelI13subtract_leftLj256ELj16ELb0EJPxS1_jEEvDpT3_
    .private_segment_fixed_size: 0
    .sgpr_count:     18
    .sgpr_spill_count: 0
    .symbol:         _Z6kernelI13subtract_leftLj256ELj16ELb0EJPxS1_jEEvDpT3_.kd
    .uniform_work_group_size: 1
    .uses_dynamic_stack: false
    .vgpr_count:     66
    .vgpr_spill_count: 0
    .wavefront_size: 32
    .workgroup_processor_mode: 1
  - .args:
      - .address_space:  global
        .offset:         0
        .size:           8
        .value_kind:     global_buffer
      - .address_space:  global
        .offset:         8
        .size:           8
        .value_kind:     global_buffer
      - .offset:         16
        .size:           4
        .value_kind:     by_value
    .group_segment_fixed_size: 4096
    .kernarg_segment_align: 8
    .kernarg_segment_size: 20
    .language:       OpenCL C
    .language_version:
      - 2
      - 0
    .max_flat_workgroup_size: 256
    .name:           _Z6kernelI13subtract_leftLj256ELj32ELb0EJPxS1_jEEvDpT3_
    .private_segment_fixed_size: 0
    .sgpr_count:     18
    .sgpr_spill_count: 0
    .symbol:         _Z6kernelI13subtract_leftLj256ELj32ELb0EJPxS1_jEEvDpT3_.kd
    .uniform_work_group_size: 1
    .uses_dynamic_stack: false
    .vgpr_count:     94
    .vgpr_spill_count: 0
    .wavefront_size: 32
    .workgroup_processor_mode: 1
  - .args:
      - .address_space:  global
        .offset:         0
        .size:           8
        .value_kind:     global_buffer
      - .address_space:  global
        .offset:         8
        .size:           8
        .value_kind:     global_buffer
      - .offset:         16
        .size:           4
        .value_kind:     by_value
    .group_segment_fixed_size: 4096
    .kernarg_segment_align: 8
    .kernarg_segment_size: 20
    .language:       OpenCL C
    .language_version:
      - 2
      - 0
    .max_flat_workgroup_size: 256
    .name:           _Z6kernelI13subtract_leftLj256ELj1ELb0EJPdS1_jEEvDpT3_
    .private_segment_fixed_size: 0
    .sgpr_count:     18
    .sgpr_spill_count: 0
    .symbol:         _Z6kernelI13subtract_leftLj256ELj1ELb0EJPdS1_jEEvDpT3_.kd
    .uniform_work_group_size: 1
    .uses_dynamic_stack: false
    .vgpr_count:     6
    .vgpr_spill_count: 0
    .wavefront_size: 32
    .workgroup_processor_mode: 1
  - .args:
      - .address_space:  global
        .offset:         0
        .size:           8
        .value_kind:     global_buffer
      - .address_space:  global
        .offset:         8
        .size:           8
        .value_kind:     global_buffer
      - .offset:         16
        .size:           4
        .value_kind:     by_value
    .group_segment_fixed_size: 4096
    .kernarg_segment_align: 8
    .kernarg_segment_size: 20
    .language:       OpenCL C
    .language_version:
      - 2
      - 0
    .max_flat_workgroup_size: 256
    .name:           _Z6kernelI13subtract_leftLj256ELj3ELb0EJPdS1_jEEvDpT3_
    .private_segment_fixed_size: 0
    .sgpr_count:     18
    .sgpr_spill_count: 0
    .symbol:         _Z6kernelI13subtract_leftLj256ELj3ELb0EJPdS1_jEEvDpT3_.kd
    .uniform_work_group_size: 1
    .uses_dynamic_stack: false
    .vgpr_count:     14
    .vgpr_spill_count: 0
    .wavefront_size: 32
    .workgroup_processor_mode: 1
  - .args:
      - .address_space:  global
        .offset:         0
        .size:           8
        .value_kind:     global_buffer
      - .address_space:  global
        .offset:         8
        .size:           8
        .value_kind:     global_buffer
      - .offset:         16
        .size:           4
        .value_kind:     by_value
    .group_segment_fixed_size: 4096
    .kernarg_segment_align: 8
    .kernarg_segment_size: 20
    .language:       OpenCL C
    .language_version:
      - 2
      - 0
    .max_flat_workgroup_size: 256
    .name:           _Z6kernelI13subtract_leftLj256ELj4ELb0EJPdS1_jEEvDpT3_
    .private_segment_fixed_size: 0
    .sgpr_count:     18
    .sgpr_spill_count: 0
    .symbol:         _Z6kernelI13subtract_leftLj256ELj4ELb0EJPdS1_jEEvDpT3_.kd
    .uniform_work_group_size: 1
    .uses_dynamic_stack: false
    .vgpr_count:     18
    .vgpr_spill_count: 0
    .wavefront_size: 32
    .workgroup_processor_mode: 1
  - .args:
      - .address_space:  global
        .offset:         0
        .size:           8
        .value_kind:     global_buffer
      - .address_space:  global
        .offset:         8
        .size:           8
        .value_kind:     global_buffer
      - .offset:         16
        .size:           4
        .value_kind:     by_value
    .group_segment_fixed_size: 4096
    .kernarg_segment_align: 8
    .kernarg_segment_size: 20
    .language:       OpenCL C
    .language_version:
      - 2
      - 0
    .max_flat_workgroup_size: 256
    .name:           _Z6kernelI13subtract_leftLj256ELj8ELb0EJPdS1_jEEvDpT3_
    .private_segment_fixed_size: 0
    .sgpr_count:     18
    .sgpr_spill_count: 0
    .symbol:         _Z6kernelI13subtract_leftLj256ELj8ELb0EJPdS1_jEEvDpT3_.kd
    .uniform_work_group_size: 1
    .uses_dynamic_stack: false
    .vgpr_count:     34
    .vgpr_spill_count: 0
    .wavefront_size: 32
    .workgroup_processor_mode: 1
  - .args:
      - .address_space:  global
        .offset:         0
        .size:           8
        .value_kind:     global_buffer
      - .address_space:  global
        .offset:         8
        .size:           8
        .value_kind:     global_buffer
      - .offset:         16
        .size:           4
        .value_kind:     by_value
    .group_segment_fixed_size: 4096
    .kernarg_segment_align: 8
    .kernarg_segment_size: 20
    .language:       OpenCL C
    .language_version:
      - 2
      - 0
    .max_flat_workgroup_size: 256
    .name:           _Z6kernelI13subtract_leftLj256ELj16ELb0EJPdS1_jEEvDpT3_
    .private_segment_fixed_size: 0
    .sgpr_count:     18
    .sgpr_spill_count: 0
    .symbol:         _Z6kernelI13subtract_leftLj256ELj16ELb0EJPdS1_jEEvDpT3_.kd
    .uniform_work_group_size: 1
    .uses_dynamic_stack: false
    .vgpr_count:     66
    .vgpr_spill_count: 0
    .wavefront_size: 32
    .workgroup_processor_mode: 1
  - .args:
      - .address_space:  global
        .offset:         0
        .size:           8
        .value_kind:     global_buffer
      - .address_space:  global
        .offset:         8
        .size:           8
        .value_kind:     global_buffer
      - .offset:         16
        .size:           4
        .value_kind:     by_value
    .group_segment_fixed_size: 4096
    .kernarg_segment_align: 8
    .kernarg_segment_size: 20
    .language:       OpenCL C
    .language_version:
      - 2
      - 0
    .max_flat_workgroup_size: 256
    .name:           _Z6kernelI13subtract_leftLj256ELj32ELb0EJPdS1_jEEvDpT3_
    .private_segment_fixed_size: 0
    .sgpr_count:     18
    .sgpr_spill_count: 0
    .symbol:         _Z6kernelI13subtract_leftLj256ELj32ELb0EJPdS1_jEEvDpT3_.kd
    .uniform_work_group_size: 1
    .uses_dynamic_stack: false
    .vgpr_count:     94
    .vgpr_spill_count: 0
    .wavefront_size: 32
    .workgroup_processor_mode: 1
  - .args:
      - .address_space:  global
        .offset:         0
        .size:           8
        .value_kind:     global_buffer
      - .address_space:  global
        .offset:         8
        .size:           8
        .value_kind:     global_buffer
      - .offset:         16
        .size:           4
        .value_kind:     by_value
    .group_segment_fixed_size: 2048
    .kernarg_segment_align: 8
    .kernarg_segment_size: 20
    .language:       OpenCL C
    .language_version:
      - 2
      - 0
    .max_flat_workgroup_size: 256
    .name:           _Z6kernelI13subtract_leftLj256ELj1ELb1EJPiS1_jEEvDpT3_
    .private_segment_fixed_size: 0
    .sgpr_count:     18
    .sgpr_spill_count: 0
    .symbol:         _Z6kernelI13subtract_leftLj256ELj1ELb1EJPiS1_jEEvDpT3_.kd
    .uniform_work_group_size: 1
    .uses_dynamic_stack: false
    .vgpr_count:     4
    .vgpr_spill_count: 0
    .wavefront_size: 32
    .workgroup_processor_mode: 1
  - .args:
      - .address_space:  global
        .offset:         0
        .size:           8
        .value_kind:     global_buffer
      - .address_space:  global
        .offset:         8
        .size:           8
        .value_kind:     global_buffer
      - .offset:         16
        .size:           4
        .value_kind:     by_value
    .group_segment_fixed_size: 2048
    .kernarg_segment_align: 8
    .kernarg_segment_size: 20
    .language:       OpenCL C
    .language_version:
      - 2
      - 0
    .max_flat_workgroup_size: 256
    .name:           _Z6kernelI13subtract_leftLj256ELj3ELb1EJPiS1_jEEvDpT3_
    .private_segment_fixed_size: 0
    .sgpr_count:     18
    .sgpr_spill_count: 0
    .symbol:         _Z6kernelI13subtract_leftLj256ELj3ELb1EJPiS1_jEEvDpT3_.kd
    .uniform_work_group_size: 1
    .uses_dynamic_stack: false
    .vgpr_count:     8
    .vgpr_spill_count: 0
    .wavefront_size: 32
    .workgroup_processor_mode: 1
  - .args:
      - .address_space:  global
        .offset:         0
        .size:           8
        .value_kind:     global_buffer
      - .address_space:  global
        .offset:         8
        .size:           8
        .value_kind:     global_buffer
      - .offset:         16
        .size:           4
        .value_kind:     by_value
    .group_segment_fixed_size: 2048
    .kernarg_segment_align: 8
    .kernarg_segment_size: 20
    .language:       OpenCL C
    .language_version:
      - 2
      - 0
    .max_flat_workgroup_size: 256
    .name:           _Z6kernelI13subtract_leftLj256ELj4ELb1EJPiS1_jEEvDpT3_
    .private_segment_fixed_size: 0
    .sgpr_count:     18
    .sgpr_spill_count: 0
    .symbol:         _Z6kernelI13subtract_leftLj256ELj4ELb1EJPiS1_jEEvDpT3_.kd
    .uniform_work_group_size: 1
    .uses_dynamic_stack: false
    .vgpr_count:     11
    .vgpr_spill_count: 0
    .wavefront_size: 32
    .workgroup_processor_mode: 1
  - .args:
      - .address_space:  global
        .offset:         0
        .size:           8
        .value_kind:     global_buffer
      - .address_space:  global
        .offset:         8
        .size:           8
        .value_kind:     global_buffer
      - .offset:         16
        .size:           4
        .value_kind:     by_value
    .group_segment_fixed_size: 2048
    .kernarg_segment_align: 8
    .kernarg_segment_size: 20
    .language:       OpenCL C
    .language_version:
      - 2
      - 0
    .max_flat_workgroup_size: 256
    .name:           _Z6kernelI13subtract_leftLj256ELj8ELb1EJPiS1_jEEvDpT3_
    .private_segment_fixed_size: 0
    .sgpr_count:     18
    .sgpr_spill_count: 0
    .symbol:         _Z6kernelI13subtract_leftLj256ELj8ELb1EJPiS1_jEEvDpT3_.kd
    .uniform_work_group_size: 1
    .uses_dynamic_stack: false
    .vgpr_count:     18
    .vgpr_spill_count: 0
    .wavefront_size: 32
    .workgroup_processor_mode: 1
  - .args:
      - .address_space:  global
        .offset:         0
        .size:           8
        .value_kind:     global_buffer
      - .address_space:  global
        .offset:         8
        .size:           8
        .value_kind:     global_buffer
      - .offset:         16
        .size:           4
        .value_kind:     by_value
    .group_segment_fixed_size: 2048
    .kernarg_segment_align: 8
    .kernarg_segment_size: 20
    .language:       OpenCL C
    .language_version:
      - 2
      - 0
    .max_flat_workgroup_size: 256
    .name:           _Z6kernelI13subtract_leftLj256ELj16ELb1EJPiS1_jEEvDpT3_
    .private_segment_fixed_size: 0
    .sgpr_count:     18
    .sgpr_spill_count: 0
    .symbol:         _Z6kernelI13subtract_leftLj256ELj16ELb1EJPiS1_jEEvDpT3_.kd
    .uniform_work_group_size: 1
    .uses_dynamic_stack: false
    .vgpr_count:     34
    .vgpr_spill_count: 0
    .wavefront_size: 32
    .workgroup_processor_mode: 1
  - .args:
      - .address_space:  global
        .offset:         0
        .size:           8
        .value_kind:     global_buffer
      - .address_space:  global
        .offset:         8
        .size:           8
        .value_kind:     global_buffer
      - .offset:         16
        .size:           4
        .value_kind:     by_value
    .group_segment_fixed_size: 2048
    .kernarg_segment_align: 8
    .kernarg_segment_size: 20
    .language:       OpenCL C
    .language_version:
      - 2
      - 0
    .max_flat_workgroup_size: 256
    .name:           _Z6kernelI13subtract_leftLj256ELj32ELb1EJPiS1_jEEvDpT3_
    .private_segment_fixed_size: 0
    .sgpr_count:     18
    .sgpr_spill_count: 0
    .symbol:         _Z6kernelI13subtract_leftLj256ELj32ELb1EJPiS1_jEEvDpT3_.kd
    .uniform_work_group_size: 1
    .uses_dynamic_stack: false
    .vgpr_count:     66
    .vgpr_spill_count: 0
    .wavefront_size: 32
    .workgroup_processor_mode: 1
  - .args:
      - .address_space:  global
        .offset:         0
        .size:           8
        .value_kind:     global_buffer
      - .address_space:  global
        .offset:         8
        .size:           8
        .value_kind:     global_buffer
      - .offset:         16
        .size:           4
        .value_kind:     by_value
    .group_segment_fixed_size: 2048
    .kernarg_segment_align: 8
    .kernarg_segment_size: 20
    .language:       OpenCL C
    .language_version:
      - 2
      - 0
    .max_flat_workgroup_size: 256
    .name:           _Z6kernelI13subtract_leftLj256ELj1ELb1EJPfS1_jEEvDpT3_
    .private_segment_fixed_size: 0
    .sgpr_count:     18
    .sgpr_spill_count: 0
    .symbol:         _Z6kernelI13subtract_leftLj256ELj1ELb1EJPfS1_jEEvDpT3_.kd
    .uniform_work_group_size: 1
    .uses_dynamic_stack: false
    .vgpr_count:     4
    .vgpr_spill_count: 0
    .wavefront_size: 32
    .workgroup_processor_mode: 1
  - .args:
      - .address_space:  global
        .offset:         0
        .size:           8
        .value_kind:     global_buffer
      - .address_space:  global
        .offset:         8
        .size:           8
        .value_kind:     global_buffer
      - .offset:         16
        .size:           4
        .value_kind:     by_value
    .group_segment_fixed_size: 2048
    .kernarg_segment_align: 8
    .kernarg_segment_size: 20
    .language:       OpenCL C
    .language_version:
      - 2
      - 0
    .max_flat_workgroup_size: 256
    .name:           _Z6kernelI13subtract_leftLj256ELj3ELb1EJPfS1_jEEvDpT3_
    .private_segment_fixed_size: 0
    .sgpr_count:     18
    .sgpr_spill_count: 0
    .symbol:         _Z6kernelI13subtract_leftLj256ELj3ELb1EJPfS1_jEEvDpT3_.kd
    .uniform_work_group_size: 1
    .uses_dynamic_stack: false
    .vgpr_count:     8
    .vgpr_spill_count: 0
    .wavefront_size: 32
    .workgroup_processor_mode: 1
  - .args:
      - .address_space:  global
        .offset:         0
        .size:           8
        .value_kind:     global_buffer
      - .address_space:  global
        .offset:         8
        .size:           8
        .value_kind:     global_buffer
      - .offset:         16
        .size:           4
        .value_kind:     by_value
    .group_segment_fixed_size: 2048
    .kernarg_segment_align: 8
    .kernarg_segment_size: 20
    .language:       OpenCL C
    .language_version:
      - 2
      - 0
    .max_flat_workgroup_size: 256
    .name:           _Z6kernelI13subtract_leftLj256ELj4ELb1EJPfS1_jEEvDpT3_
    .private_segment_fixed_size: 0
    .sgpr_count:     18
    .sgpr_spill_count: 0
    .symbol:         _Z6kernelI13subtract_leftLj256ELj4ELb1EJPfS1_jEEvDpT3_.kd
    .uniform_work_group_size: 1
    .uses_dynamic_stack: false
    .vgpr_count:     10
    .vgpr_spill_count: 0
    .wavefront_size: 32
    .workgroup_processor_mode: 1
  - .args:
      - .address_space:  global
        .offset:         0
        .size:           8
        .value_kind:     global_buffer
      - .address_space:  global
        .offset:         8
        .size:           8
        .value_kind:     global_buffer
      - .offset:         16
        .size:           4
        .value_kind:     by_value
    .group_segment_fixed_size: 2048
    .kernarg_segment_align: 8
    .kernarg_segment_size: 20
    .language:       OpenCL C
    .language_version:
      - 2
      - 0
    .max_flat_workgroup_size: 256
    .name:           _Z6kernelI13subtract_leftLj256ELj8ELb1EJPfS1_jEEvDpT3_
    .private_segment_fixed_size: 0
    .sgpr_count:     18
    .sgpr_spill_count: 0
    .symbol:         _Z6kernelI13subtract_leftLj256ELj8ELb1EJPfS1_jEEvDpT3_.kd
    .uniform_work_group_size: 1
    .uses_dynamic_stack: false
    .vgpr_count:     18
    .vgpr_spill_count: 0
    .wavefront_size: 32
    .workgroup_processor_mode: 1
  - .args:
      - .address_space:  global
        .offset:         0
        .size:           8
        .value_kind:     global_buffer
      - .address_space:  global
        .offset:         8
        .size:           8
        .value_kind:     global_buffer
      - .offset:         16
        .size:           4
        .value_kind:     by_value
    .group_segment_fixed_size: 2048
    .kernarg_segment_align: 8
    .kernarg_segment_size: 20
    .language:       OpenCL C
    .language_version:
      - 2
      - 0
    .max_flat_workgroup_size: 256
    .name:           _Z6kernelI13subtract_leftLj256ELj16ELb1EJPfS1_jEEvDpT3_
    .private_segment_fixed_size: 0
    .sgpr_count:     18
    .sgpr_spill_count: 0
    .symbol:         _Z6kernelI13subtract_leftLj256ELj16ELb1EJPfS1_jEEvDpT3_.kd
    .uniform_work_group_size: 1
    .uses_dynamic_stack: false
    .vgpr_count:     34
    .vgpr_spill_count: 0
    .wavefront_size: 32
    .workgroup_processor_mode: 1
  - .args:
      - .address_space:  global
        .offset:         0
        .size:           8
        .value_kind:     global_buffer
      - .address_space:  global
        .offset:         8
        .size:           8
        .value_kind:     global_buffer
      - .offset:         16
        .size:           4
        .value_kind:     by_value
    .group_segment_fixed_size: 2048
    .kernarg_segment_align: 8
    .kernarg_segment_size: 20
    .language:       OpenCL C
    .language_version:
      - 2
      - 0
    .max_flat_workgroup_size: 256
    .name:           _Z6kernelI13subtract_leftLj256ELj32ELb1EJPfS1_jEEvDpT3_
    .private_segment_fixed_size: 0
    .sgpr_count:     18
    .sgpr_spill_count: 0
    .symbol:         _Z6kernelI13subtract_leftLj256ELj32ELb1EJPfS1_jEEvDpT3_.kd
    .uniform_work_group_size: 1
    .uses_dynamic_stack: false
    .vgpr_count:     66
    .vgpr_spill_count: 0
    .wavefront_size: 32
    .workgroup_processor_mode: 1
  - .args:
      - .address_space:  global
        .offset:         0
        .size:           8
        .value_kind:     global_buffer
      - .address_space:  global
        .offset:         8
        .size:           8
        .value_kind:     global_buffer
      - .offset:         16
        .size:           4
        .value_kind:     by_value
    .group_segment_fixed_size: 512
    .kernarg_segment_align: 8
    .kernarg_segment_size: 20
    .language:       OpenCL C
    .language_version:
      - 2
      - 0
    .max_flat_workgroup_size: 256
    .name:           _Z6kernelI13subtract_leftLj256ELj1ELb1EJPaS1_jEEvDpT3_
    .private_segment_fixed_size: 0
    .sgpr_count:     18
    .sgpr_spill_count: 0
    .symbol:         _Z6kernelI13subtract_leftLj256ELj1ELb1EJPaS1_jEEvDpT3_.kd
    .uniform_work_group_size: 1
    .uses_dynamic_stack: false
    .vgpr_count:     4
    .vgpr_spill_count: 0
    .wavefront_size: 32
    .workgroup_processor_mode: 1
  - .args:
      - .address_space:  global
        .offset:         0
        .size:           8
        .value_kind:     global_buffer
      - .address_space:  global
        .offset:         8
        .size:           8
        .value_kind:     global_buffer
      - .offset:         16
        .size:           4
        .value_kind:     by_value
    .group_segment_fixed_size: 512
    .kernarg_segment_align: 8
    .kernarg_segment_size: 20
    .language:       OpenCL C
    .language_version:
      - 2
      - 0
    .max_flat_workgroup_size: 256
    .name:           _Z6kernelI13subtract_leftLj256ELj3ELb1EJPaS1_jEEvDpT3_
    .private_segment_fixed_size: 0
    .sgpr_count:     18
    .sgpr_spill_count: 0
    .symbol:         _Z6kernelI13subtract_leftLj256ELj3ELb1EJPaS1_jEEvDpT3_.kd
    .uniform_work_group_size: 1
    .uses_dynamic_stack: false
    .vgpr_count:     8
    .vgpr_spill_count: 0
    .wavefront_size: 32
    .workgroup_processor_mode: 1
  - .args:
      - .address_space:  global
        .offset:         0
        .size:           8
        .value_kind:     global_buffer
      - .address_space:  global
        .offset:         8
        .size:           8
        .value_kind:     global_buffer
      - .offset:         16
        .size:           4
        .value_kind:     by_value
    .group_segment_fixed_size: 512
    .kernarg_segment_align: 8
    .kernarg_segment_size: 20
    .language:       OpenCL C
    .language_version:
      - 2
      - 0
    .max_flat_workgroup_size: 256
    .name:           _Z6kernelI13subtract_leftLj256ELj4ELb1EJPaS1_jEEvDpT3_
    .private_segment_fixed_size: 0
    .sgpr_count:     18
    .sgpr_spill_count: 0
    .symbol:         _Z6kernelI13subtract_leftLj256ELj4ELb1EJPaS1_jEEvDpT3_.kd
    .uniform_work_group_size: 1
    .uses_dynamic_stack: false
    .vgpr_count:     10
    .vgpr_spill_count: 0
    .wavefront_size: 32
    .workgroup_processor_mode: 1
  - .args:
      - .address_space:  global
        .offset:         0
        .size:           8
        .value_kind:     global_buffer
      - .address_space:  global
        .offset:         8
        .size:           8
        .value_kind:     global_buffer
      - .offset:         16
        .size:           4
        .value_kind:     by_value
    .group_segment_fixed_size: 512
    .kernarg_segment_align: 8
    .kernarg_segment_size: 20
    .language:       OpenCL C
    .language_version:
      - 2
      - 0
    .max_flat_workgroup_size: 256
    .name:           _Z6kernelI13subtract_leftLj256ELj8ELb1EJPaS1_jEEvDpT3_
    .private_segment_fixed_size: 0
    .sgpr_count:     18
    .sgpr_spill_count: 0
    .symbol:         _Z6kernelI13subtract_leftLj256ELj8ELb1EJPaS1_jEEvDpT3_.kd
    .uniform_work_group_size: 1
    .uses_dynamic_stack: false
    .vgpr_count:     15
    .vgpr_spill_count: 0
    .wavefront_size: 32
    .workgroup_processor_mode: 1
  - .args:
      - .address_space:  global
        .offset:         0
        .size:           8
        .value_kind:     global_buffer
      - .address_space:  global
        .offset:         8
        .size:           8
        .value_kind:     global_buffer
      - .offset:         16
        .size:           4
        .value_kind:     by_value
    .group_segment_fixed_size: 512
    .kernarg_segment_align: 8
    .kernarg_segment_size: 20
    .language:       OpenCL C
    .language_version:
      - 2
      - 0
    .max_flat_workgroup_size: 256
    .name:           _Z6kernelI13subtract_leftLj256ELj16ELb1EJPaS1_jEEvDpT3_
    .private_segment_fixed_size: 0
    .sgpr_count:     18
    .sgpr_spill_count: 0
    .symbol:         _Z6kernelI13subtract_leftLj256ELj16ELb1EJPaS1_jEEvDpT3_.kd
    .uniform_work_group_size: 1
    .uses_dynamic_stack: false
    .vgpr_count:     24
    .vgpr_spill_count: 0
    .wavefront_size: 32
    .workgroup_processor_mode: 1
  - .args:
      - .address_space:  global
        .offset:         0
        .size:           8
        .value_kind:     global_buffer
      - .address_space:  global
        .offset:         8
        .size:           8
        .value_kind:     global_buffer
      - .offset:         16
        .size:           4
        .value_kind:     by_value
    .group_segment_fixed_size: 512
    .kernarg_segment_align: 8
    .kernarg_segment_size: 20
    .language:       OpenCL C
    .language_version:
      - 2
      - 0
    .max_flat_workgroup_size: 256
    .name:           _Z6kernelI13subtract_leftLj256ELj32ELb1EJPaS1_jEEvDpT3_
    .private_segment_fixed_size: 0
    .sgpr_count:     18
    .sgpr_spill_count: 0
    .symbol:         _Z6kernelI13subtract_leftLj256ELj32ELb1EJPaS1_jEEvDpT3_.kd
    .uniform_work_group_size: 1
    .uses_dynamic_stack: false
    .vgpr_count:     66
    .vgpr_spill_count: 0
    .wavefront_size: 32
    .workgroup_processor_mode: 1
  - .args:
      - .address_space:  global
        .offset:         0
        .size:           8
        .value_kind:     global_buffer
      - .address_space:  global
        .offset:         8
        .size:           8
        .value_kind:     global_buffer
      - .offset:         16
        .size:           4
        .value_kind:     by_value
    .group_segment_fixed_size: 4096
    .kernarg_segment_align: 8
    .kernarg_segment_size: 20
    .language:       OpenCL C
    .language_version:
      - 2
      - 0
    .max_flat_workgroup_size: 256
    .name:           _Z6kernelI13subtract_leftLj256ELj1ELb1EJPxS1_jEEvDpT3_
    .private_segment_fixed_size: 0
    .sgpr_count:     18
    .sgpr_spill_count: 0
    .symbol:         _Z6kernelI13subtract_leftLj256ELj1ELb1EJPxS1_jEEvDpT3_.kd
    .uniform_work_group_size: 1
    .uses_dynamic_stack: false
    .vgpr_count:     6
    .vgpr_spill_count: 0
    .wavefront_size: 32
    .workgroup_processor_mode: 1
  - .args:
      - .address_space:  global
        .offset:         0
        .size:           8
        .value_kind:     global_buffer
      - .address_space:  global
        .offset:         8
        .size:           8
        .value_kind:     global_buffer
      - .offset:         16
        .size:           4
        .value_kind:     by_value
    .group_segment_fixed_size: 4096
    .kernarg_segment_align: 8
    .kernarg_segment_size: 20
    .language:       OpenCL C
    .language_version:
      - 2
      - 0
    .max_flat_workgroup_size: 256
    .name:           _Z6kernelI13subtract_leftLj256ELj3ELb1EJPxS1_jEEvDpT3_
    .private_segment_fixed_size: 0
    .sgpr_count:     18
    .sgpr_spill_count: 0
    .symbol:         _Z6kernelI13subtract_leftLj256ELj3ELb1EJPxS1_jEEvDpT3_.kd
    .uniform_work_group_size: 1
    .uses_dynamic_stack: false
    .vgpr_count:     14
    .vgpr_spill_count: 0
    .wavefront_size: 32
    .workgroup_processor_mode: 1
  - .args:
      - .address_space:  global
        .offset:         0
        .size:           8
        .value_kind:     global_buffer
      - .address_space:  global
        .offset:         8
        .size:           8
        .value_kind:     global_buffer
      - .offset:         16
        .size:           4
        .value_kind:     by_value
    .group_segment_fixed_size: 4096
    .kernarg_segment_align: 8
    .kernarg_segment_size: 20
    .language:       OpenCL C
    .language_version:
      - 2
      - 0
    .max_flat_workgroup_size: 256
    .name:           _Z6kernelI13subtract_leftLj256ELj4ELb1EJPxS1_jEEvDpT3_
    .private_segment_fixed_size: 0
    .sgpr_count:     18
    .sgpr_spill_count: 0
    .symbol:         _Z6kernelI13subtract_leftLj256ELj4ELb1EJPxS1_jEEvDpT3_.kd
    .uniform_work_group_size: 1
    .uses_dynamic_stack: false
    .vgpr_count:     18
    .vgpr_spill_count: 0
    .wavefront_size: 32
    .workgroup_processor_mode: 1
  - .args:
      - .address_space:  global
        .offset:         0
        .size:           8
        .value_kind:     global_buffer
      - .address_space:  global
        .offset:         8
        .size:           8
        .value_kind:     global_buffer
      - .offset:         16
        .size:           4
        .value_kind:     by_value
    .group_segment_fixed_size: 4096
    .kernarg_segment_align: 8
    .kernarg_segment_size: 20
    .language:       OpenCL C
    .language_version:
      - 2
      - 0
    .max_flat_workgroup_size: 256
    .name:           _Z6kernelI13subtract_leftLj256ELj8ELb1EJPxS1_jEEvDpT3_
    .private_segment_fixed_size: 0
    .sgpr_count:     18
    .sgpr_spill_count: 0
    .symbol:         _Z6kernelI13subtract_leftLj256ELj8ELb1EJPxS1_jEEvDpT3_.kd
    .uniform_work_group_size: 1
    .uses_dynamic_stack: false
    .vgpr_count:     34
    .vgpr_spill_count: 0
    .wavefront_size: 32
    .workgroup_processor_mode: 1
  - .args:
      - .address_space:  global
        .offset:         0
        .size:           8
        .value_kind:     global_buffer
      - .address_space:  global
        .offset:         8
        .size:           8
        .value_kind:     global_buffer
      - .offset:         16
        .size:           4
        .value_kind:     by_value
    .group_segment_fixed_size: 4096
    .kernarg_segment_align: 8
    .kernarg_segment_size: 20
    .language:       OpenCL C
    .language_version:
      - 2
      - 0
    .max_flat_workgroup_size: 256
    .name:           _Z6kernelI13subtract_leftLj256ELj16ELb1EJPxS1_jEEvDpT3_
    .private_segment_fixed_size: 0
    .sgpr_count:     18
    .sgpr_spill_count: 0
    .symbol:         _Z6kernelI13subtract_leftLj256ELj16ELb1EJPxS1_jEEvDpT3_.kd
    .uniform_work_group_size: 1
    .uses_dynamic_stack: false
    .vgpr_count:     66
    .vgpr_spill_count: 0
    .wavefront_size: 32
    .workgroup_processor_mode: 1
  - .args:
      - .address_space:  global
        .offset:         0
        .size:           8
        .value_kind:     global_buffer
      - .address_space:  global
        .offset:         8
        .size:           8
        .value_kind:     global_buffer
      - .offset:         16
        .size:           4
        .value_kind:     by_value
    .group_segment_fixed_size: 4096
    .kernarg_segment_align: 8
    .kernarg_segment_size: 20
    .language:       OpenCL C
    .language_version:
      - 2
      - 0
    .max_flat_workgroup_size: 256
    .name:           _Z6kernelI13subtract_leftLj256ELj32ELb1EJPxS1_jEEvDpT3_
    .private_segment_fixed_size: 0
    .sgpr_count:     18
    .sgpr_spill_count: 0
    .symbol:         _Z6kernelI13subtract_leftLj256ELj32ELb1EJPxS1_jEEvDpT3_.kd
    .uniform_work_group_size: 1
    .uses_dynamic_stack: false
    .vgpr_count:     94
    .vgpr_spill_count: 0
    .wavefront_size: 32
    .workgroup_processor_mode: 1
  - .args:
      - .address_space:  global
        .offset:         0
        .size:           8
        .value_kind:     global_buffer
      - .address_space:  global
        .offset:         8
        .size:           8
        .value_kind:     global_buffer
      - .offset:         16
        .size:           4
        .value_kind:     by_value
    .group_segment_fixed_size: 4096
    .kernarg_segment_align: 8
    .kernarg_segment_size: 20
    .language:       OpenCL C
    .language_version:
      - 2
      - 0
    .max_flat_workgroup_size: 256
    .name:           _Z6kernelI13subtract_leftLj256ELj1ELb1EJPdS1_jEEvDpT3_
    .private_segment_fixed_size: 0
    .sgpr_count:     18
    .sgpr_spill_count: 0
    .symbol:         _Z6kernelI13subtract_leftLj256ELj1ELb1EJPdS1_jEEvDpT3_.kd
    .uniform_work_group_size: 1
    .uses_dynamic_stack: false
    .vgpr_count:     6
    .vgpr_spill_count: 0
    .wavefront_size: 32
    .workgroup_processor_mode: 1
  - .args:
      - .address_space:  global
        .offset:         0
        .size:           8
        .value_kind:     global_buffer
      - .address_space:  global
        .offset:         8
        .size:           8
        .value_kind:     global_buffer
      - .offset:         16
        .size:           4
        .value_kind:     by_value
    .group_segment_fixed_size: 4096
    .kernarg_segment_align: 8
    .kernarg_segment_size: 20
    .language:       OpenCL C
    .language_version:
      - 2
      - 0
    .max_flat_workgroup_size: 256
    .name:           _Z6kernelI13subtract_leftLj256ELj3ELb1EJPdS1_jEEvDpT3_
    .private_segment_fixed_size: 0
    .sgpr_count:     18
    .sgpr_spill_count: 0
    .symbol:         _Z6kernelI13subtract_leftLj256ELj3ELb1EJPdS1_jEEvDpT3_.kd
    .uniform_work_group_size: 1
    .uses_dynamic_stack: false
    .vgpr_count:     14
    .vgpr_spill_count: 0
    .wavefront_size: 32
    .workgroup_processor_mode: 1
  - .args:
      - .address_space:  global
        .offset:         0
        .size:           8
        .value_kind:     global_buffer
      - .address_space:  global
        .offset:         8
        .size:           8
        .value_kind:     global_buffer
      - .offset:         16
        .size:           4
        .value_kind:     by_value
    .group_segment_fixed_size: 4096
    .kernarg_segment_align: 8
    .kernarg_segment_size: 20
    .language:       OpenCL C
    .language_version:
      - 2
      - 0
    .max_flat_workgroup_size: 256
    .name:           _Z6kernelI13subtract_leftLj256ELj4ELb1EJPdS1_jEEvDpT3_
    .private_segment_fixed_size: 0
    .sgpr_count:     18
    .sgpr_spill_count: 0
    .symbol:         _Z6kernelI13subtract_leftLj256ELj4ELb1EJPdS1_jEEvDpT3_.kd
    .uniform_work_group_size: 1
    .uses_dynamic_stack: false
    .vgpr_count:     18
    .vgpr_spill_count: 0
    .wavefront_size: 32
    .workgroup_processor_mode: 1
  - .args:
      - .address_space:  global
        .offset:         0
        .size:           8
        .value_kind:     global_buffer
      - .address_space:  global
        .offset:         8
        .size:           8
        .value_kind:     global_buffer
      - .offset:         16
        .size:           4
        .value_kind:     by_value
    .group_segment_fixed_size: 4096
    .kernarg_segment_align: 8
    .kernarg_segment_size: 20
    .language:       OpenCL C
    .language_version:
      - 2
      - 0
    .max_flat_workgroup_size: 256
    .name:           _Z6kernelI13subtract_leftLj256ELj8ELb1EJPdS1_jEEvDpT3_
    .private_segment_fixed_size: 0
    .sgpr_count:     18
    .sgpr_spill_count: 0
    .symbol:         _Z6kernelI13subtract_leftLj256ELj8ELb1EJPdS1_jEEvDpT3_.kd
    .uniform_work_group_size: 1
    .uses_dynamic_stack: false
    .vgpr_count:     34
    .vgpr_spill_count: 0
    .wavefront_size: 32
    .workgroup_processor_mode: 1
  - .args:
      - .address_space:  global
        .offset:         0
        .size:           8
        .value_kind:     global_buffer
      - .address_space:  global
        .offset:         8
        .size:           8
        .value_kind:     global_buffer
      - .offset:         16
        .size:           4
        .value_kind:     by_value
    .group_segment_fixed_size: 4096
    .kernarg_segment_align: 8
    .kernarg_segment_size: 20
    .language:       OpenCL C
    .language_version:
      - 2
      - 0
    .max_flat_workgroup_size: 256
    .name:           _Z6kernelI13subtract_leftLj256ELj16ELb1EJPdS1_jEEvDpT3_
    .private_segment_fixed_size: 0
    .sgpr_count:     18
    .sgpr_spill_count: 0
    .symbol:         _Z6kernelI13subtract_leftLj256ELj16ELb1EJPdS1_jEEvDpT3_.kd
    .uniform_work_group_size: 1
    .uses_dynamic_stack: false
    .vgpr_count:     66
    .vgpr_spill_count: 0
    .wavefront_size: 32
    .workgroup_processor_mode: 1
  - .args:
      - .address_space:  global
        .offset:         0
        .size:           8
        .value_kind:     global_buffer
      - .address_space:  global
        .offset:         8
        .size:           8
        .value_kind:     global_buffer
      - .offset:         16
        .size:           4
        .value_kind:     by_value
    .group_segment_fixed_size: 4096
    .kernarg_segment_align: 8
    .kernarg_segment_size: 20
    .language:       OpenCL C
    .language_version:
      - 2
      - 0
    .max_flat_workgroup_size: 256
    .name:           _Z6kernelI13subtract_leftLj256ELj32ELb1EJPdS1_jEEvDpT3_
    .private_segment_fixed_size: 0
    .sgpr_count:     18
    .sgpr_spill_count: 0
    .symbol:         _Z6kernelI13subtract_leftLj256ELj32ELb1EJPdS1_jEEvDpT3_.kd
    .uniform_work_group_size: 1
    .uses_dynamic_stack: false
    .vgpr_count:     94
    .vgpr_spill_count: 0
    .wavefront_size: 32
    .workgroup_processor_mode: 1
  - .args:
      - .address_space:  global
        .offset:         0
        .size:           8
        .value_kind:     global_buffer
      - .address_space:  global
        .offset:         8
        .size:           8
        .value_kind:     global_buffer
      - .offset:         16
        .size:           4
        .value_kind:     by_value
    .group_segment_fixed_size: 2048
    .kernarg_segment_align: 8
    .kernarg_segment_size: 20
    .language:       OpenCL C
    .language_version:
      - 2
      - 0
    .max_flat_workgroup_size: 256
    .name:           _Z6kernelI14subtract_rightLj256ELj1ELb0EJPiS1_jEEvDpT3_
    .private_segment_fixed_size: 0
    .sgpr_count:     18
    .sgpr_spill_count: 0
    .symbol:         _Z6kernelI14subtract_rightLj256ELj1ELb0EJPiS1_jEEvDpT3_.kd
    .uniform_work_group_size: 1
    .uses_dynamic_stack: false
    .vgpr_count:     4
    .vgpr_spill_count: 0
    .wavefront_size: 32
    .workgroup_processor_mode: 1
  - .args:
      - .address_space:  global
        .offset:         0
        .size:           8
        .value_kind:     global_buffer
      - .address_space:  global
        .offset:         8
        .size:           8
        .value_kind:     global_buffer
      - .offset:         16
        .size:           4
        .value_kind:     by_value
    .group_segment_fixed_size: 2048
    .kernarg_segment_align: 8
    .kernarg_segment_size: 20
    .language:       OpenCL C
    .language_version:
      - 2
      - 0
    .max_flat_workgroup_size: 256
    .name:           _Z6kernelI14subtract_rightLj256ELj3ELb0EJPiS1_jEEvDpT3_
    .private_segment_fixed_size: 0
    .sgpr_count:     18
    .sgpr_spill_count: 0
    .symbol:         _Z6kernelI14subtract_rightLj256ELj3ELb0EJPiS1_jEEvDpT3_.kd
    .uniform_work_group_size: 1
    .uses_dynamic_stack: false
    .vgpr_count:     8
    .vgpr_spill_count: 0
    .wavefront_size: 32
    .workgroup_processor_mode: 1
  - .args:
      - .address_space:  global
        .offset:         0
        .size:           8
        .value_kind:     global_buffer
      - .address_space:  global
        .offset:         8
        .size:           8
        .value_kind:     global_buffer
      - .offset:         16
        .size:           4
        .value_kind:     by_value
    .group_segment_fixed_size: 2048
    .kernarg_segment_align: 8
    .kernarg_segment_size: 20
    .language:       OpenCL C
    .language_version:
      - 2
      - 0
    .max_flat_workgroup_size: 256
    .name:           _Z6kernelI14subtract_rightLj256ELj4ELb0EJPiS1_jEEvDpT3_
    .private_segment_fixed_size: 0
    .sgpr_count:     18
    .sgpr_spill_count: 0
    .symbol:         _Z6kernelI14subtract_rightLj256ELj4ELb0EJPiS1_jEEvDpT3_.kd
    .uniform_work_group_size: 1
    .uses_dynamic_stack: false
    .vgpr_count:     10
    .vgpr_spill_count: 0
    .wavefront_size: 32
    .workgroup_processor_mode: 1
  - .args:
      - .address_space:  global
        .offset:         0
        .size:           8
        .value_kind:     global_buffer
      - .address_space:  global
        .offset:         8
        .size:           8
        .value_kind:     global_buffer
      - .offset:         16
        .size:           4
        .value_kind:     by_value
    .group_segment_fixed_size: 2048
    .kernarg_segment_align: 8
    .kernarg_segment_size: 20
    .language:       OpenCL C
    .language_version:
      - 2
      - 0
    .max_flat_workgroup_size: 256
    .name:           _Z6kernelI14subtract_rightLj256ELj8ELb0EJPiS1_jEEvDpT3_
    .private_segment_fixed_size: 0
    .sgpr_count:     18
    .sgpr_spill_count: 0
    .symbol:         _Z6kernelI14subtract_rightLj256ELj8ELb0EJPiS1_jEEvDpT3_.kd
    .uniform_work_group_size: 1
    .uses_dynamic_stack: false
    .vgpr_count:     16
    .vgpr_spill_count: 0
    .wavefront_size: 32
    .workgroup_processor_mode: 1
  - .args:
      - .address_space:  global
        .offset:         0
        .size:           8
        .value_kind:     global_buffer
      - .address_space:  global
        .offset:         8
        .size:           8
        .value_kind:     global_buffer
      - .offset:         16
        .size:           4
        .value_kind:     by_value
    .group_segment_fixed_size: 2048
    .kernarg_segment_align: 8
    .kernarg_segment_size: 20
    .language:       OpenCL C
    .language_version:
      - 2
      - 0
    .max_flat_workgroup_size: 256
    .name:           _Z6kernelI14subtract_rightLj256ELj16ELb0EJPiS1_jEEvDpT3_
    .private_segment_fixed_size: 0
    .sgpr_count:     18
    .sgpr_spill_count: 0
    .symbol:         _Z6kernelI14subtract_rightLj256ELj16ELb0EJPiS1_jEEvDpT3_.kd
    .uniform_work_group_size: 1
    .uses_dynamic_stack: false
    .vgpr_count:     34
    .vgpr_spill_count: 0
    .wavefront_size: 32
    .workgroup_processor_mode: 1
  - .args:
      - .address_space:  global
        .offset:         0
        .size:           8
        .value_kind:     global_buffer
      - .address_space:  global
        .offset:         8
        .size:           8
        .value_kind:     global_buffer
      - .offset:         16
        .size:           4
        .value_kind:     by_value
    .group_segment_fixed_size: 2048
    .kernarg_segment_align: 8
    .kernarg_segment_size: 20
    .language:       OpenCL C
    .language_version:
      - 2
      - 0
    .max_flat_workgroup_size: 256
    .name:           _Z6kernelI14subtract_rightLj256ELj32ELb0EJPiS1_jEEvDpT3_
    .private_segment_fixed_size: 0
    .sgpr_count:     18
    .sgpr_spill_count: 0
    .symbol:         _Z6kernelI14subtract_rightLj256ELj32ELb0EJPiS1_jEEvDpT3_.kd
    .uniform_work_group_size: 1
    .uses_dynamic_stack: false
    .vgpr_count:     66
    .vgpr_spill_count: 0
    .wavefront_size: 32
    .workgroup_processor_mode: 1
  - .args:
      - .address_space:  global
        .offset:         0
        .size:           8
        .value_kind:     global_buffer
      - .address_space:  global
        .offset:         8
        .size:           8
        .value_kind:     global_buffer
      - .offset:         16
        .size:           4
        .value_kind:     by_value
    .group_segment_fixed_size: 2048
    .kernarg_segment_align: 8
    .kernarg_segment_size: 20
    .language:       OpenCL C
    .language_version:
      - 2
      - 0
    .max_flat_workgroup_size: 256
    .name:           _Z6kernelI14subtract_rightLj256ELj1ELb0EJPfS1_jEEvDpT3_
    .private_segment_fixed_size: 0
    .sgpr_count:     18
    .sgpr_spill_count: 0
    .symbol:         _Z6kernelI14subtract_rightLj256ELj1ELb0EJPfS1_jEEvDpT3_.kd
    .uniform_work_group_size: 1
    .uses_dynamic_stack: false
    .vgpr_count:     4
    .vgpr_spill_count: 0
    .wavefront_size: 32
    .workgroup_processor_mode: 1
  - .args:
      - .address_space:  global
        .offset:         0
        .size:           8
        .value_kind:     global_buffer
      - .address_space:  global
        .offset:         8
        .size:           8
        .value_kind:     global_buffer
      - .offset:         16
        .size:           4
        .value_kind:     by_value
    .group_segment_fixed_size: 2048
    .kernarg_segment_align: 8
    .kernarg_segment_size: 20
    .language:       OpenCL C
    .language_version:
      - 2
      - 0
    .max_flat_workgroup_size: 256
    .name:           _Z6kernelI14subtract_rightLj256ELj3ELb0EJPfS1_jEEvDpT3_
    .private_segment_fixed_size: 0
    .sgpr_count:     18
    .sgpr_spill_count: 0
    .symbol:         _Z6kernelI14subtract_rightLj256ELj3ELb0EJPfS1_jEEvDpT3_.kd
    .uniform_work_group_size: 1
    .uses_dynamic_stack: false
    .vgpr_count:     8
    .vgpr_spill_count: 0
    .wavefront_size: 32
    .workgroup_processor_mode: 1
  - .args:
      - .address_space:  global
        .offset:         0
        .size:           8
        .value_kind:     global_buffer
      - .address_space:  global
        .offset:         8
        .size:           8
        .value_kind:     global_buffer
      - .offset:         16
        .size:           4
        .value_kind:     by_value
    .group_segment_fixed_size: 2048
    .kernarg_segment_align: 8
    .kernarg_segment_size: 20
    .language:       OpenCL C
    .language_version:
      - 2
      - 0
    .max_flat_workgroup_size: 256
    .name:           _Z6kernelI14subtract_rightLj256ELj4ELb0EJPfS1_jEEvDpT3_
    .private_segment_fixed_size: 0
    .sgpr_count:     18
    .sgpr_spill_count: 0
    .symbol:         _Z6kernelI14subtract_rightLj256ELj4ELb0EJPfS1_jEEvDpT3_.kd
    .uniform_work_group_size: 1
    .uses_dynamic_stack: false
    .vgpr_count:     10
    .vgpr_spill_count: 0
    .wavefront_size: 32
    .workgroup_processor_mode: 1
  - .args:
      - .address_space:  global
        .offset:         0
        .size:           8
        .value_kind:     global_buffer
      - .address_space:  global
        .offset:         8
        .size:           8
        .value_kind:     global_buffer
      - .offset:         16
        .size:           4
        .value_kind:     by_value
    .group_segment_fixed_size: 2048
    .kernarg_segment_align: 8
    .kernarg_segment_size: 20
    .language:       OpenCL C
    .language_version:
      - 2
      - 0
    .max_flat_workgroup_size: 256
    .name:           _Z6kernelI14subtract_rightLj256ELj8ELb0EJPfS1_jEEvDpT3_
    .private_segment_fixed_size: 0
    .sgpr_count:     18
    .sgpr_spill_count: 0
    .symbol:         _Z6kernelI14subtract_rightLj256ELj8ELb0EJPfS1_jEEvDpT3_.kd
    .uniform_work_group_size: 1
    .uses_dynamic_stack: false
    .vgpr_count:     18
    .vgpr_spill_count: 0
    .wavefront_size: 32
    .workgroup_processor_mode: 1
  - .args:
      - .address_space:  global
        .offset:         0
        .size:           8
        .value_kind:     global_buffer
      - .address_space:  global
        .offset:         8
        .size:           8
        .value_kind:     global_buffer
      - .offset:         16
        .size:           4
        .value_kind:     by_value
    .group_segment_fixed_size: 2048
    .kernarg_segment_align: 8
    .kernarg_segment_size: 20
    .language:       OpenCL C
    .language_version:
      - 2
      - 0
    .max_flat_workgroup_size: 256
    .name:           _Z6kernelI14subtract_rightLj256ELj16ELb0EJPfS1_jEEvDpT3_
    .private_segment_fixed_size: 0
    .sgpr_count:     18
    .sgpr_spill_count: 0
    .symbol:         _Z6kernelI14subtract_rightLj256ELj16ELb0EJPfS1_jEEvDpT3_.kd
    .uniform_work_group_size: 1
    .uses_dynamic_stack: false
    .vgpr_count:     34
    .vgpr_spill_count: 0
    .wavefront_size: 32
    .workgroup_processor_mode: 1
  - .args:
      - .address_space:  global
        .offset:         0
        .size:           8
        .value_kind:     global_buffer
      - .address_space:  global
        .offset:         8
        .size:           8
        .value_kind:     global_buffer
      - .offset:         16
        .size:           4
        .value_kind:     by_value
    .group_segment_fixed_size: 2048
    .kernarg_segment_align: 8
    .kernarg_segment_size: 20
    .language:       OpenCL C
    .language_version:
      - 2
      - 0
    .max_flat_workgroup_size: 256
    .name:           _Z6kernelI14subtract_rightLj256ELj32ELb0EJPfS1_jEEvDpT3_
    .private_segment_fixed_size: 0
    .sgpr_count:     18
    .sgpr_spill_count: 0
    .symbol:         _Z6kernelI14subtract_rightLj256ELj32ELb0EJPfS1_jEEvDpT3_.kd
    .uniform_work_group_size: 1
    .uses_dynamic_stack: false
    .vgpr_count:     66
    .vgpr_spill_count: 0
    .wavefront_size: 32
    .workgroup_processor_mode: 1
  - .args:
      - .address_space:  global
        .offset:         0
        .size:           8
        .value_kind:     global_buffer
      - .address_space:  global
        .offset:         8
        .size:           8
        .value_kind:     global_buffer
      - .offset:         16
        .size:           4
        .value_kind:     by_value
    .group_segment_fixed_size: 512
    .kernarg_segment_align: 8
    .kernarg_segment_size: 20
    .language:       OpenCL C
    .language_version:
      - 2
      - 0
    .max_flat_workgroup_size: 256
    .name:           _Z6kernelI14subtract_rightLj256ELj1ELb0EJPaS1_jEEvDpT3_
    .private_segment_fixed_size: 0
    .sgpr_count:     18
    .sgpr_spill_count: 0
    .symbol:         _Z6kernelI14subtract_rightLj256ELj1ELb0EJPaS1_jEEvDpT3_.kd
    .uniform_work_group_size: 1
    .uses_dynamic_stack: false
    .vgpr_count:     4
    .vgpr_spill_count: 0
    .wavefront_size: 32
    .workgroup_processor_mode: 1
  - .args:
      - .address_space:  global
        .offset:         0
        .size:           8
        .value_kind:     global_buffer
      - .address_space:  global
        .offset:         8
        .size:           8
        .value_kind:     global_buffer
      - .offset:         16
        .size:           4
        .value_kind:     by_value
    .group_segment_fixed_size: 512
    .kernarg_segment_align: 8
    .kernarg_segment_size: 20
    .language:       OpenCL C
    .language_version:
      - 2
      - 0
    .max_flat_workgroup_size: 256
    .name:           _Z6kernelI14subtract_rightLj256ELj3ELb0EJPaS1_jEEvDpT3_
    .private_segment_fixed_size: 0
    .sgpr_count:     18
    .sgpr_spill_count: 0
    .symbol:         _Z6kernelI14subtract_rightLj256ELj3ELb0EJPaS1_jEEvDpT3_.kd
    .uniform_work_group_size: 1
    .uses_dynamic_stack: false
    .vgpr_count:     7
    .vgpr_spill_count: 0
    .wavefront_size: 32
    .workgroup_processor_mode: 1
  - .args:
      - .address_space:  global
        .offset:         0
        .size:           8
        .value_kind:     global_buffer
      - .address_space:  global
        .offset:         8
        .size:           8
        .value_kind:     global_buffer
      - .offset:         16
        .size:           4
        .value_kind:     by_value
    .group_segment_fixed_size: 512
    .kernarg_segment_align: 8
    .kernarg_segment_size: 20
    .language:       OpenCL C
    .language_version:
      - 2
      - 0
    .max_flat_workgroup_size: 256
    .name:           _Z6kernelI14subtract_rightLj256ELj4ELb0EJPaS1_jEEvDpT3_
    .private_segment_fixed_size: 0
    .sgpr_count:     18
    .sgpr_spill_count: 0
    .symbol:         _Z6kernelI14subtract_rightLj256ELj4ELb0EJPaS1_jEEvDpT3_.kd
    .uniform_work_group_size: 1
    .uses_dynamic_stack: false
    .vgpr_count:     9
    .vgpr_spill_count: 0
    .wavefront_size: 32
    .workgroup_processor_mode: 1
  - .args:
      - .address_space:  global
        .offset:         0
        .size:           8
        .value_kind:     global_buffer
      - .address_space:  global
        .offset:         8
        .size:           8
        .value_kind:     global_buffer
      - .offset:         16
        .size:           4
        .value_kind:     by_value
    .group_segment_fixed_size: 512
    .kernarg_segment_align: 8
    .kernarg_segment_size: 20
    .language:       OpenCL C
    .language_version:
      - 2
      - 0
    .max_flat_workgroup_size: 256
    .name:           _Z6kernelI14subtract_rightLj256ELj8ELb0EJPaS1_jEEvDpT3_
    .private_segment_fixed_size: 0
    .sgpr_count:     18
    .sgpr_spill_count: 0
    .symbol:         _Z6kernelI14subtract_rightLj256ELj8ELb0EJPaS1_jEEvDpT3_.kd
    .uniform_work_group_size: 1
    .uses_dynamic_stack: false
    .vgpr_count:     21
    .vgpr_spill_count: 0
    .wavefront_size: 32
    .workgroup_processor_mode: 1
  - .args:
      - .address_space:  global
        .offset:         0
        .size:           8
        .value_kind:     global_buffer
      - .address_space:  global
        .offset:         8
        .size:           8
        .value_kind:     global_buffer
      - .offset:         16
        .size:           4
        .value_kind:     by_value
    .group_segment_fixed_size: 512
    .kernarg_segment_align: 8
    .kernarg_segment_size: 20
    .language:       OpenCL C
    .language_version:
      - 2
      - 0
    .max_flat_workgroup_size: 256
    .name:           _Z6kernelI14subtract_rightLj256ELj16ELb0EJPaS1_jEEvDpT3_
    .private_segment_fixed_size: 0
    .sgpr_count:     18
    .sgpr_spill_count: 0
    .symbol:         _Z6kernelI14subtract_rightLj256ELj16ELb0EJPaS1_jEEvDpT3_.kd
    .uniform_work_group_size: 1
    .uses_dynamic_stack: false
    .vgpr_count:     38
    .vgpr_spill_count: 0
    .wavefront_size: 32
    .workgroup_processor_mode: 1
  - .args:
      - .address_space:  global
        .offset:         0
        .size:           8
        .value_kind:     global_buffer
      - .address_space:  global
        .offset:         8
        .size:           8
        .value_kind:     global_buffer
      - .offset:         16
        .size:           4
        .value_kind:     by_value
    .group_segment_fixed_size: 512
    .kernarg_segment_align: 8
    .kernarg_segment_size: 20
    .language:       OpenCL C
    .language_version:
      - 2
      - 0
    .max_flat_workgroup_size: 256
    .name:           _Z6kernelI14subtract_rightLj256ELj32ELb0EJPaS1_jEEvDpT3_
    .private_segment_fixed_size: 0
    .sgpr_count:     18
    .sgpr_spill_count: 0
    .symbol:         _Z6kernelI14subtract_rightLj256ELj32ELb0EJPaS1_jEEvDpT3_.kd
    .uniform_work_group_size: 1
    .uses_dynamic_stack: false
    .vgpr_count:     65
    .vgpr_spill_count: 0
    .wavefront_size: 32
    .workgroup_processor_mode: 1
  - .args:
      - .address_space:  global
        .offset:         0
        .size:           8
        .value_kind:     global_buffer
      - .address_space:  global
        .offset:         8
        .size:           8
        .value_kind:     global_buffer
      - .offset:         16
        .size:           4
        .value_kind:     by_value
    .group_segment_fixed_size: 4096
    .kernarg_segment_align: 8
    .kernarg_segment_size: 20
    .language:       OpenCL C
    .language_version:
      - 2
      - 0
    .max_flat_workgroup_size: 256
    .name:           _Z6kernelI14subtract_rightLj256ELj1ELb0EJPxS1_jEEvDpT3_
    .private_segment_fixed_size: 0
    .sgpr_count:     18
    .sgpr_spill_count: 0
    .symbol:         _Z6kernelI14subtract_rightLj256ELj1ELb0EJPxS1_jEEvDpT3_.kd
    .uniform_work_group_size: 1
    .uses_dynamic_stack: false
    .vgpr_count:     6
    .vgpr_spill_count: 0
    .wavefront_size: 32
    .workgroup_processor_mode: 1
  - .args:
      - .address_space:  global
        .offset:         0
        .size:           8
        .value_kind:     global_buffer
      - .address_space:  global
        .offset:         8
        .size:           8
        .value_kind:     global_buffer
      - .offset:         16
        .size:           4
        .value_kind:     by_value
    .group_segment_fixed_size: 4096
    .kernarg_segment_align: 8
    .kernarg_segment_size: 20
    .language:       OpenCL C
    .language_version:
      - 2
      - 0
    .max_flat_workgroup_size: 256
    .name:           _Z6kernelI14subtract_rightLj256ELj3ELb0EJPxS1_jEEvDpT3_
    .private_segment_fixed_size: 0
    .sgpr_count:     18
    .sgpr_spill_count: 0
    .symbol:         _Z6kernelI14subtract_rightLj256ELj3ELb0EJPxS1_jEEvDpT3_.kd
    .uniform_work_group_size: 1
    .uses_dynamic_stack: false
    .vgpr_count:     12
    .vgpr_spill_count: 0
    .wavefront_size: 32
    .workgroup_processor_mode: 1
  - .args:
      - .address_space:  global
        .offset:         0
        .size:           8
        .value_kind:     global_buffer
      - .address_space:  global
        .offset:         8
        .size:           8
        .value_kind:     global_buffer
      - .offset:         16
        .size:           4
        .value_kind:     by_value
    .group_segment_fixed_size: 4096
    .kernarg_segment_align: 8
    .kernarg_segment_size: 20
    .language:       OpenCL C
    .language_version:
      - 2
      - 0
    .max_flat_workgroup_size: 256
    .name:           _Z6kernelI14subtract_rightLj256ELj4ELb0EJPxS1_jEEvDpT3_
    .private_segment_fixed_size: 0
    .sgpr_count:     18
    .sgpr_spill_count: 0
    .symbol:         _Z6kernelI14subtract_rightLj256ELj4ELb0EJPxS1_jEEvDpT3_.kd
    .uniform_work_group_size: 1
    .uses_dynamic_stack: false
    .vgpr_count:     16
    .vgpr_spill_count: 0
    .wavefront_size: 32
    .workgroup_processor_mode: 1
  - .args:
      - .address_space:  global
        .offset:         0
        .size:           8
        .value_kind:     global_buffer
      - .address_space:  global
        .offset:         8
        .size:           8
        .value_kind:     global_buffer
      - .offset:         16
        .size:           4
        .value_kind:     by_value
    .group_segment_fixed_size: 4096
    .kernarg_segment_align: 8
    .kernarg_segment_size: 20
    .language:       OpenCL C
    .language_version:
      - 2
      - 0
    .max_flat_workgroup_size: 256
    .name:           _Z6kernelI14subtract_rightLj256ELj8ELb0EJPxS1_jEEvDpT3_
    .private_segment_fixed_size: 0
    .sgpr_count:     18
    .sgpr_spill_count: 0
    .symbol:         _Z6kernelI14subtract_rightLj256ELj8ELb0EJPxS1_jEEvDpT3_.kd
    .uniform_work_group_size: 1
    .uses_dynamic_stack: false
    .vgpr_count:     34
    .vgpr_spill_count: 0
    .wavefront_size: 32
    .workgroup_processor_mode: 1
  - .args:
      - .address_space:  global
        .offset:         0
        .size:           8
        .value_kind:     global_buffer
      - .address_space:  global
        .offset:         8
        .size:           8
        .value_kind:     global_buffer
      - .offset:         16
        .size:           4
        .value_kind:     by_value
    .group_segment_fixed_size: 4096
    .kernarg_segment_align: 8
    .kernarg_segment_size: 20
    .language:       OpenCL C
    .language_version:
      - 2
      - 0
    .max_flat_workgroup_size: 256
    .name:           _Z6kernelI14subtract_rightLj256ELj16ELb0EJPxS1_jEEvDpT3_
    .private_segment_fixed_size: 0
    .sgpr_count:     18
    .sgpr_spill_count: 0
    .symbol:         _Z6kernelI14subtract_rightLj256ELj16ELb0EJPxS1_jEEvDpT3_.kd
    .uniform_work_group_size: 1
    .uses_dynamic_stack: false
    .vgpr_count:     66
    .vgpr_spill_count: 0
    .wavefront_size: 32
    .workgroup_processor_mode: 1
  - .args:
      - .address_space:  global
        .offset:         0
        .size:           8
        .value_kind:     global_buffer
      - .address_space:  global
        .offset:         8
        .size:           8
        .value_kind:     global_buffer
      - .offset:         16
        .size:           4
        .value_kind:     by_value
    .group_segment_fixed_size: 4096
    .kernarg_segment_align: 8
    .kernarg_segment_size: 20
    .language:       OpenCL C
    .language_version:
      - 2
      - 0
    .max_flat_workgroup_size: 256
    .name:           _Z6kernelI14subtract_rightLj256ELj32ELb0EJPxS1_jEEvDpT3_
    .private_segment_fixed_size: 0
    .sgpr_count:     18
    .sgpr_spill_count: 0
    .symbol:         _Z6kernelI14subtract_rightLj256ELj32ELb0EJPxS1_jEEvDpT3_.kd
    .uniform_work_group_size: 1
    .uses_dynamic_stack: false
    .vgpr_count:     94
    .vgpr_spill_count: 0
    .wavefront_size: 32
    .workgroup_processor_mode: 1
  - .args:
      - .address_space:  global
        .offset:         0
        .size:           8
        .value_kind:     global_buffer
      - .address_space:  global
        .offset:         8
        .size:           8
        .value_kind:     global_buffer
      - .offset:         16
        .size:           4
        .value_kind:     by_value
    .group_segment_fixed_size: 4096
    .kernarg_segment_align: 8
    .kernarg_segment_size: 20
    .language:       OpenCL C
    .language_version:
      - 2
      - 0
    .max_flat_workgroup_size: 256
    .name:           _Z6kernelI14subtract_rightLj256ELj1ELb0EJPdS1_jEEvDpT3_
    .private_segment_fixed_size: 0
    .sgpr_count:     18
    .sgpr_spill_count: 0
    .symbol:         _Z6kernelI14subtract_rightLj256ELj1ELb0EJPdS1_jEEvDpT3_.kd
    .uniform_work_group_size: 1
    .uses_dynamic_stack: false
    .vgpr_count:     6
    .vgpr_spill_count: 0
    .wavefront_size: 32
    .workgroup_processor_mode: 1
  - .args:
      - .address_space:  global
        .offset:         0
        .size:           8
        .value_kind:     global_buffer
      - .address_space:  global
        .offset:         8
        .size:           8
        .value_kind:     global_buffer
      - .offset:         16
        .size:           4
        .value_kind:     by_value
    .group_segment_fixed_size: 4096
    .kernarg_segment_align: 8
    .kernarg_segment_size: 20
    .language:       OpenCL C
    .language_version:
      - 2
      - 0
    .max_flat_workgroup_size: 256
    .name:           _Z6kernelI14subtract_rightLj256ELj3ELb0EJPdS1_jEEvDpT3_
    .private_segment_fixed_size: 0
    .sgpr_count:     18
    .sgpr_spill_count: 0
    .symbol:         _Z6kernelI14subtract_rightLj256ELj3ELb0EJPdS1_jEEvDpT3_.kd
    .uniform_work_group_size: 1
    .uses_dynamic_stack: false
    .vgpr_count:     14
    .vgpr_spill_count: 0
    .wavefront_size: 32
    .workgroup_processor_mode: 1
  - .args:
      - .address_space:  global
        .offset:         0
        .size:           8
        .value_kind:     global_buffer
      - .address_space:  global
        .offset:         8
        .size:           8
        .value_kind:     global_buffer
      - .offset:         16
        .size:           4
        .value_kind:     by_value
    .group_segment_fixed_size: 4096
    .kernarg_segment_align: 8
    .kernarg_segment_size: 20
    .language:       OpenCL C
    .language_version:
      - 2
      - 0
    .max_flat_workgroup_size: 256
    .name:           _Z6kernelI14subtract_rightLj256ELj4ELb0EJPdS1_jEEvDpT3_
    .private_segment_fixed_size: 0
    .sgpr_count:     18
    .sgpr_spill_count: 0
    .symbol:         _Z6kernelI14subtract_rightLj256ELj4ELb0EJPdS1_jEEvDpT3_.kd
    .uniform_work_group_size: 1
    .uses_dynamic_stack: false
    .vgpr_count:     18
    .vgpr_spill_count: 0
    .wavefront_size: 32
    .workgroup_processor_mode: 1
  - .args:
      - .address_space:  global
        .offset:         0
        .size:           8
        .value_kind:     global_buffer
      - .address_space:  global
        .offset:         8
        .size:           8
        .value_kind:     global_buffer
      - .offset:         16
        .size:           4
        .value_kind:     by_value
    .group_segment_fixed_size: 4096
    .kernarg_segment_align: 8
    .kernarg_segment_size: 20
    .language:       OpenCL C
    .language_version:
      - 2
      - 0
    .max_flat_workgroup_size: 256
    .name:           _Z6kernelI14subtract_rightLj256ELj8ELb0EJPdS1_jEEvDpT3_
    .private_segment_fixed_size: 0
    .sgpr_count:     18
    .sgpr_spill_count: 0
    .symbol:         _Z6kernelI14subtract_rightLj256ELj8ELb0EJPdS1_jEEvDpT3_.kd
    .uniform_work_group_size: 1
    .uses_dynamic_stack: false
    .vgpr_count:     34
    .vgpr_spill_count: 0
    .wavefront_size: 32
    .workgroup_processor_mode: 1
  - .args:
      - .address_space:  global
        .offset:         0
        .size:           8
        .value_kind:     global_buffer
      - .address_space:  global
        .offset:         8
        .size:           8
        .value_kind:     global_buffer
      - .offset:         16
        .size:           4
        .value_kind:     by_value
    .group_segment_fixed_size: 4096
    .kernarg_segment_align: 8
    .kernarg_segment_size: 20
    .language:       OpenCL C
    .language_version:
      - 2
      - 0
    .max_flat_workgroup_size: 256
    .name:           _Z6kernelI14subtract_rightLj256ELj16ELb0EJPdS1_jEEvDpT3_
    .private_segment_fixed_size: 0
    .sgpr_count:     18
    .sgpr_spill_count: 0
    .symbol:         _Z6kernelI14subtract_rightLj256ELj16ELb0EJPdS1_jEEvDpT3_.kd
    .uniform_work_group_size: 1
    .uses_dynamic_stack: false
    .vgpr_count:     66
    .vgpr_spill_count: 0
    .wavefront_size: 32
    .workgroup_processor_mode: 1
  - .args:
      - .address_space:  global
        .offset:         0
        .size:           8
        .value_kind:     global_buffer
      - .address_space:  global
        .offset:         8
        .size:           8
        .value_kind:     global_buffer
      - .offset:         16
        .size:           4
        .value_kind:     by_value
    .group_segment_fixed_size: 4096
    .kernarg_segment_align: 8
    .kernarg_segment_size: 20
    .language:       OpenCL C
    .language_version:
      - 2
      - 0
    .max_flat_workgroup_size: 256
    .name:           _Z6kernelI14subtract_rightLj256ELj32ELb0EJPdS1_jEEvDpT3_
    .private_segment_fixed_size: 0
    .sgpr_count:     18
    .sgpr_spill_count: 0
    .symbol:         _Z6kernelI14subtract_rightLj256ELj32ELb0EJPdS1_jEEvDpT3_.kd
    .uniform_work_group_size: 1
    .uses_dynamic_stack: false
    .vgpr_count:     94
    .vgpr_spill_count: 0
    .wavefront_size: 32
    .workgroup_processor_mode: 1
  - .args:
      - .address_space:  global
        .offset:         0
        .size:           8
        .value_kind:     global_buffer
      - .address_space:  global
        .offset:         8
        .size:           8
        .value_kind:     global_buffer
      - .offset:         16
        .size:           4
        .value_kind:     by_value
    .group_segment_fixed_size: 2048
    .kernarg_segment_align: 8
    .kernarg_segment_size: 20
    .language:       OpenCL C
    .language_version:
      - 2
      - 0
    .max_flat_workgroup_size: 256
    .name:           _Z6kernelI14subtract_rightLj256ELj1ELb1EJPiS1_jEEvDpT3_
    .private_segment_fixed_size: 0
    .sgpr_count:     18
    .sgpr_spill_count: 0
    .symbol:         _Z6kernelI14subtract_rightLj256ELj1ELb1EJPiS1_jEEvDpT3_.kd
    .uniform_work_group_size: 1
    .uses_dynamic_stack: false
    .vgpr_count:     4
    .vgpr_spill_count: 0
    .wavefront_size: 32
    .workgroup_processor_mode: 1
  - .args:
      - .address_space:  global
        .offset:         0
        .size:           8
        .value_kind:     global_buffer
      - .address_space:  global
        .offset:         8
        .size:           8
        .value_kind:     global_buffer
      - .offset:         16
        .size:           4
        .value_kind:     by_value
    .group_segment_fixed_size: 2048
    .kernarg_segment_align: 8
    .kernarg_segment_size: 20
    .language:       OpenCL C
    .language_version:
      - 2
      - 0
    .max_flat_workgroup_size: 256
    .name:           _Z6kernelI14subtract_rightLj256ELj3ELb1EJPiS1_jEEvDpT3_
    .private_segment_fixed_size: 0
    .sgpr_count:     18
    .sgpr_spill_count: 0
    .symbol:         _Z6kernelI14subtract_rightLj256ELj3ELb1EJPiS1_jEEvDpT3_.kd
    .uniform_work_group_size: 1
    .uses_dynamic_stack: false
    .vgpr_count:     8
    .vgpr_spill_count: 0
    .wavefront_size: 32
    .workgroup_processor_mode: 1
  - .args:
      - .address_space:  global
        .offset:         0
        .size:           8
        .value_kind:     global_buffer
      - .address_space:  global
        .offset:         8
        .size:           8
        .value_kind:     global_buffer
      - .offset:         16
        .size:           4
        .value_kind:     by_value
    .group_segment_fixed_size: 2048
    .kernarg_segment_align: 8
    .kernarg_segment_size: 20
    .language:       OpenCL C
    .language_version:
      - 2
      - 0
    .max_flat_workgroup_size: 256
    .name:           _Z6kernelI14subtract_rightLj256ELj4ELb1EJPiS1_jEEvDpT3_
    .private_segment_fixed_size: 0
    .sgpr_count:     18
    .sgpr_spill_count: 0
    .symbol:         _Z6kernelI14subtract_rightLj256ELj4ELb1EJPiS1_jEEvDpT3_.kd
    .uniform_work_group_size: 1
    .uses_dynamic_stack: false
    .vgpr_count:     10
    .vgpr_spill_count: 0
    .wavefront_size: 32
    .workgroup_processor_mode: 1
  - .args:
      - .address_space:  global
        .offset:         0
        .size:           8
        .value_kind:     global_buffer
      - .address_space:  global
        .offset:         8
        .size:           8
        .value_kind:     global_buffer
      - .offset:         16
        .size:           4
        .value_kind:     by_value
    .group_segment_fixed_size: 2048
    .kernarg_segment_align: 8
    .kernarg_segment_size: 20
    .language:       OpenCL C
    .language_version:
      - 2
      - 0
    .max_flat_workgroup_size: 256
    .name:           _Z6kernelI14subtract_rightLj256ELj8ELb1EJPiS1_jEEvDpT3_
    .private_segment_fixed_size: 0
    .sgpr_count:     18
    .sgpr_spill_count: 0
    .symbol:         _Z6kernelI14subtract_rightLj256ELj8ELb1EJPiS1_jEEvDpT3_.kd
    .uniform_work_group_size: 1
    .uses_dynamic_stack: false
    .vgpr_count:     15
    .vgpr_spill_count: 0
    .wavefront_size: 32
    .workgroup_processor_mode: 1
  - .args:
      - .address_space:  global
        .offset:         0
        .size:           8
        .value_kind:     global_buffer
      - .address_space:  global
        .offset:         8
        .size:           8
        .value_kind:     global_buffer
      - .offset:         16
        .size:           4
        .value_kind:     by_value
    .group_segment_fixed_size: 2048
    .kernarg_segment_align: 8
    .kernarg_segment_size: 20
    .language:       OpenCL C
    .language_version:
      - 2
      - 0
    .max_flat_workgroup_size: 256
    .name:           _Z6kernelI14subtract_rightLj256ELj16ELb1EJPiS1_jEEvDpT3_
    .private_segment_fixed_size: 0
    .sgpr_count:     18
    .sgpr_spill_count: 0
    .symbol:         _Z6kernelI14subtract_rightLj256ELj16ELb1EJPiS1_jEEvDpT3_.kd
    .uniform_work_group_size: 1
    .uses_dynamic_stack: false
    .vgpr_count:     34
    .vgpr_spill_count: 0
    .wavefront_size: 32
    .workgroup_processor_mode: 1
  - .args:
      - .address_space:  global
        .offset:         0
        .size:           8
        .value_kind:     global_buffer
      - .address_space:  global
        .offset:         8
        .size:           8
        .value_kind:     global_buffer
      - .offset:         16
        .size:           4
        .value_kind:     by_value
    .group_segment_fixed_size: 2048
    .kernarg_segment_align: 8
    .kernarg_segment_size: 20
    .language:       OpenCL C
    .language_version:
      - 2
      - 0
    .max_flat_workgroup_size: 256
    .name:           _Z6kernelI14subtract_rightLj256ELj32ELb1EJPiS1_jEEvDpT3_
    .private_segment_fixed_size: 0
    .sgpr_count:     18
    .sgpr_spill_count: 0
    .symbol:         _Z6kernelI14subtract_rightLj256ELj32ELb1EJPiS1_jEEvDpT3_.kd
    .uniform_work_group_size: 1
    .uses_dynamic_stack: false
    .vgpr_count:     66
    .vgpr_spill_count: 0
    .wavefront_size: 32
    .workgroup_processor_mode: 1
  - .args:
      - .address_space:  global
        .offset:         0
        .size:           8
        .value_kind:     global_buffer
      - .address_space:  global
        .offset:         8
        .size:           8
        .value_kind:     global_buffer
      - .offset:         16
        .size:           4
        .value_kind:     by_value
    .group_segment_fixed_size: 2048
    .kernarg_segment_align: 8
    .kernarg_segment_size: 20
    .language:       OpenCL C
    .language_version:
      - 2
      - 0
    .max_flat_workgroup_size: 256
    .name:           _Z6kernelI14subtract_rightLj256ELj1ELb1EJPfS1_jEEvDpT3_
    .private_segment_fixed_size: 0
    .sgpr_count:     18
    .sgpr_spill_count: 0
    .symbol:         _Z6kernelI14subtract_rightLj256ELj1ELb1EJPfS1_jEEvDpT3_.kd
    .uniform_work_group_size: 1
    .uses_dynamic_stack: false
    .vgpr_count:     4
    .vgpr_spill_count: 0
    .wavefront_size: 32
    .workgroup_processor_mode: 1
  - .args:
      - .address_space:  global
        .offset:         0
        .size:           8
        .value_kind:     global_buffer
      - .address_space:  global
        .offset:         8
        .size:           8
        .value_kind:     global_buffer
      - .offset:         16
        .size:           4
        .value_kind:     by_value
    .group_segment_fixed_size: 2048
    .kernarg_segment_align: 8
    .kernarg_segment_size: 20
    .language:       OpenCL C
    .language_version:
      - 2
      - 0
    .max_flat_workgroup_size: 256
    .name:           _Z6kernelI14subtract_rightLj256ELj3ELb1EJPfS1_jEEvDpT3_
    .private_segment_fixed_size: 0
    .sgpr_count:     18
    .sgpr_spill_count: 0
    .symbol:         _Z6kernelI14subtract_rightLj256ELj3ELb1EJPfS1_jEEvDpT3_.kd
    .uniform_work_group_size: 1
    .uses_dynamic_stack: false
    .vgpr_count:     8
    .vgpr_spill_count: 0
    .wavefront_size: 32
    .workgroup_processor_mode: 1
  - .args:
      - .address_space:  global
        .offset:         0
        .size:           8
        .value_kind:     global_buffer
      - .address_space:  global
        .offset:         8
        .size:           8
        .value_kind:     global_buffer
      - .offset:         16
        .size:           4
        .value_kind:     by_value
    .group_segment_fixed_size: 2048
    .kernarg_segment_align: 8
    .kernarg_segment_size: 20
    .language:       OpenCL C
    .language_version:
      - 2
      - 0
    .max_flat_workgroup_size: 256
    .name:           _Z6kernelI14subtract_rightLj256ELj4ELb1EJPfS1_jEEvDpT3_
    .private_segment_fixed_size: 0
    .sgpr_count:     18
    .sgpr_spill_count: 0
    .symbol:         _Z6kernelI14subtract_rightLj256ELj4ELb1EJPfS1_jEEvDpT3_.kd
    .uniform_work_group_size: 1
    .uses_dynamic_stack: false
    .vgpr_count:     10
    .vgpr_spill_count: 0
    .wavefront_size: 32
    .workgroup_processor_mode: 1
  - .args:
      - .address_space:  global
        .offset:         0
        .size:           8
        .value_kind:     global_buffer
      - .address_space:  global
        .offset:         8
        .size:           8
        .value_kind:     global_buffer
      - .offset:         16
        .size:           4
        .value_kind:     by_value
    .group_segment_fixed_size: 2048
    .kernarg_segment_align: 8
    .kernarg_segment_size: 20
    .language:       OpenCL C
    .language_version:
      - 2
      - 0
    .max_flat_workgroup_size: 256
    .name:           _Z6kernelI14subtract_rightLj256ELj8ELb1EJPfS1_jEEvDpT3_
    .private_segment_fixed_size: 0
    .sgpr_count:     18
    .sgpr_spill_count: 0
    .symbol:         _Z6kernelI14subtract_rightLj256ELj8ELb1EJPfS1_jEEvDpT3_.kd
    .uniform_work_group_size: 1
    .uses_dynamic_stack: false
    .vgpr_count:     18
    .vgpr_spill_count: 0
    .wavefront_size: 32
    .workgroup_processor_mode: 1
  - .args:
      - .address_space:  global
        .offset:         0
        .size:           8
        .value_kind:     global_buffer
      - .address_space:  global
        .offset:         8
        .size:           8
        .value_kind:     global_buffer
      - .offset:         16
        .size:           4
        .value_kind:     by_value
    .group_segment_fixed_size: 2048
    .kernarg_segment_align: 8
    .kernarg_segment_size: 20
    .language:       OpenCL C
    .language_version:
      - 2
      - 0
    .max_flat_workgroup_size: 256
    .name:           _Z6kernelI14subtract_rightLj256ELj16ELb1EJPfS1_jEEvDpT3_
    .private_segment_fixed_size: 0
    .sgpr_count:     18
    .sgpr_spill_count: 0
    .symbol:         _Z6kernelI14subtract_rightLj256ELj16ELb1EJPfS1_jEEvDpT3_.kd
    .uniform_work_group_size: 1
    .uses_dynamic_stack: false
    .vgpr_count:     34
    .vgpr_spill_count: 0
    .wavefront_size: 32
    .workgroup_processor_mode: 1
  - .args:
      - .address_space:  global
        .offset:         0
        .size:           8
        .value_kind:     global_buffer
      - .address_space:  global
        .offset:         8
        .size:           8
        .value_kind:     global_buffer
      - .offset:         16
        .size:           4
        .value_kind:     by_value
    .group_segment_fixed_size: 2048
    .kernarg_segment_align: 8
    .kernarg_segment_size: 20
    .language:       OpenCL C
    .language_version:
      - 2
      - 0
    .max_flat_workgroup_size: 256
    .name:           _Z6kernelI14subtract_rightLj256ELj32ELb1EJPfS1_jEEvDpT3_
    .private_segment_fixed_size: 0
    .sgpr_count:     18
    .sgpr_spill_count: 0
    .symbol:         _Z6kernelI14subtract_rightLj256ELj32ELb1EJPfS1_jEEvDpT3_.kd
    .uniform_work_group_size: 1
    .uses_dynamic_stack: false
    .vgpr_count:     66
    .vgpr_spill_count: 0
    .wavefront_size: 32
    .workgroup_processor_mode: 1
  - .args:
      - .address_space:  global
        .offset:         0
        .size:           8
        .value_kind:     global_buffer
      - .address_space:  global
        .offset:         8
        .size:           8
        .value_kind:     global_buffer
      - .offset:         16
        .size:           4
        .value_kind:     by_value
    .group_segment_fixed_size: 512
    .kernarg_segment_align: 8
    .kernarg_segment_size: 20
    .language:       OpenCL C
    .language_version:
      - 2
      - 0
    .max_flat_workgroup_size: 256
    .name:           _Z6kernelI14subtract_rightLj256ELj1ELb1EJPaS1_jEEvDpT3_
    .private_segment_fixed_size: 0
    .sgpr_count:     18
    .sgpr_spill_count: 0
    .symbol:         _Z6kernelI14subtract_rightLj256ELj1ELb1EJPaS1_jEEvDpT3_.kd
    .uniform_work_group_size: 1
    .uses_dynamic_stack: false
    .vgpr_count:     4
    .vgpr_spill_count: 0
    .wavefront_size: 32
    .workgroup_processor_mode: 1
  - .args:
      - .address_space:  global
        .offset:         0
        .size:           8
        .value_kind:     global_buffer
      - .address_space:  global
        .offset:         8
        .size:           8
        .value_kind:     global_buffer
      - .offset:         16
        .size:           4
        .value_kind:     by_value
    .group_segment_fixed_size: 512
    .kernarg_segment_align: 8
    .kernarg_segment_size: 20
    .language:       OpenCL C
    .language_version:
      - 2
      - 0
    .max_flat_workgroup_size: 256
    .name:           _Z6kernelI14subtract_rightLj256ELj3ELb1EJPaS1_jEEvDpT3_
    .private_segment_fixed_size: 0
    .sgpr_count:     18
    .sgpr_spill_count: 0
    .symbol:         _Z6kernelI14subtract_rightLj256ELj3ELb1EJPaS1_jEEvDpT3_.kd
    .uniform_work_group_size: 1
    .uses_dynamic_stack: false
    .vgpr_count:     7
    .vgpr_spill_count: 0
    .wavefront_size: 32
    .workgroup_processor_mode: 1
  - .args:
      - .address_space:  global
        .offset:         0
        .size:           8
        .value_kind:     global_buffer
      - .address_space:  global
        .offset:         8
        .size:           8
        .value_kind:     global_buffer
      - .offset:         16
        .size:           4
        .value_kind:     by_value
    .group_segment_fixed_size: 512
    .kernarg_segment_align: 8
    .kernarg_segment_size: 20
    .language:       OpenCL C
    .language_version:
      - 2
      - 0
    .max_flat_workgroup_size: 256
    .name:           _Z6kernelI14subtract_rightLj256ELj4ELb1EJPaS1_jEEvDpT3_
    .private_segment_fixed_size: 0
    .sgpr_count:     18
    .sgpr_spill_count: 0
    .symbol:         _Z6kernelI14subtract_rightLj256ELj4ELb1EJPaS1_jEEvDpT3_.kd
    .uniform_work_group_size: 1
    .uses_dynamic_stack: false
    .vgpr_count:     9
    .vgpr_spill_count: 0
    .wavefront_size: 32
    .workgroup_processor_mode: 1
  - .args:
      - .address_space:  global
        .offset:         0
        .size:           8
        .value_kind:     global_buffer
      - .address_space:  global
        .offset:         8
        .size:           8
        .value_kind:     global_buffer
      - .offset:         16
        .size:           4
        .value_kind:     by_value
    .group_segment_fixed_size: 512
    .kernarg_segment_align: 8
    .kernarg_segment_size: 20
    .language:       OpenCL C
    .language_version:
      - 2
      - 0
    .max_flat_workgroup_size: 256
    .name:           _Z6kernelI14subtract_rightLj256ELj8ELb1EJPaS1_jEEvDpT3_
    .private_segment_fixed_size: 0
    .sgpr_count:     18
    .sgpr_spill_count: 0
    .symbol:         _Z6kernelI14subtract_rightLj256ELj8ELb1EJPaS1_jEEvDpT3_.kd
    .uniform_work_group_size: 1
    .uses_dynamic_stack: false
    .vgpr_count:     14
    .vgpr_spill_count: 0
    .wavefront_size: 32
    .workgroup_processor_mode: 1
  - .args:
      - .address_space:  global
        .offset:         0
        .size:           8
        .value_kind:     global_buffer
      - .address_space:  global
        .offset:         8
        .size:           8
        .value_kind:     global_buffer
      - .offset:         16
        .size:           4
        .value_kind:     by_value
    .group_segment_fixed_size: 512
    .kernarg_segment_align: 8
    .kernarg_segment_size: 20
    .language:       OpenCL C
    .language_version:
      - 2
      - 0
    .max_flat_workgroup_size: 256
    .name:           _Z6kernelI14subtract_rightLj256ELj16ELb1EJPaS1_jEEvDpT3_
    .private_segment_fixed_size: 0
    .sgpr_count:     18
    .sgpr_spill_count: 0
    .symbol:         _Z6kernelI14subtract_rightLj256ELj16ELb1EJPaS1_jEEvDpT3_.kd
    .uniform_work_group_size: 1
    .uses_dynamic_stack: false
    .vgpr_count:     22
    .vgpr_spill_count: 0
    .wavefront_size: 32
    .workgroup_processor_mode: 1
  - .args:
      - .address_space:  global
        .offset:         0
        .size:           8
        .value_kind:     global_buffer
      - .address_space:  global
        .offset:         8
        .size:           8
        .value_kind:     global_buffer
      - .offset:         16
        .size:           4
        .value_kind:     by_value
    .group_segment_fixed_size: 512
    .kernarg_segment_align: 8
    .kernarg_segment_size: 20
    .language:       OpenCL C
    .language_version:
      - 2
      - 0
    .max_flat_workgroup_size: 256
    .name:           _Z6kernelI14subtract_rightLj256ELj32ELb1EJPaS1_jEEvDpT3_
    .private_segment_fixed_size: 0
    .sgpr_count:     18
    .sgpr_spill_count: 0
    .symbol:         _Z6kernelI14subtract_rightLj256ELj32ELb1EJPaS1_jEEvDpT3_.kd
    .uniform_work_group_size: 1
    .uses_dynamic_stack: false
    .vgpr_count:     65
    .vgpr_spill_count: 0
    .wavefront_size: 32
    .workgroup_processor_mode: 1
  - .args:
      - .address_space:  global
        .offset:         0
        .size:           8
        .value_kind:     global_buffer
      - .address_space:  global
        .offset:         8
        .size:           8
        .value_kind:     global_buffer
      - .offset:         16
        .size:           4
        .value_kind:     by_value
    .group_segment_fixed_size: 4096
    .kernarg_segment_align: 8
    .kernarg_segment_size: 20
    .language:       OpenCL C
    .language_version:
      - 2
      - 0
    .max_flat_workgroup_size: 256
    .name:           _Z6kernelI14subtract_rightLj256ELj1ELb1EJPxS1_jEEvDpT3_
    .private_segment_fixed_size: 0
    .sgpr_count:     18
    .sgpr_spill_count: 0
    .symbol:         _Z6kernelI14subtract_rightLj256ELj1ELb1EJPxS1_jEEvDpT3_.kd
    .uniform_work_group_size: 1
    .uses_dynamic_stack: false
    .vgpr_count:     6
    .vgpr_spill_count: 0
    .wavefront_size: 32
    .workgroup_processor_mode: 1
  - .args:
      - .address_space:  global
        .offset:         0
        .size:           8
        .value_kind:     global_buffer
      - .address_space:  global
        .offset:         8
        .size:           8
        .value_kind:     global_buffer
      - .offset:         16
        .size:           4
        .value_kind:     by_value
    .group_segment_fixed_size: 4096
    .kernarg_segment_align: 8
    .kernarg_segment_size: 20
    .language:       OpenCL C
    .language_version:
      - 2
      - 0
    .max_flat_workgroup_size: 256
    .name:           _Z6kernelI14subtract_rightLj256ELj3ELb1EJPxS1_jEEvDpT3_
    .private_segment_fixed_size: 0
    .sgpr_count:     18
    .sgpr_spill_count: 0
    .symbol:         _Z6kernelI14subtract_rightLj256ELj3ELb1EJPxS1_jEEvDpT3_.kd
    .uniform_work_group_size: 1
    .uses_dynamic_stack: false
    .vgpr_count:     14
    .vgpr_spill_count: 0
    .wavefront_size: 32
    .workgroup_processor_mode: 1
  - .args:
      - .address_space:  global
        .offset:         0
        .size:           8
        .value_kind:     global_buffer
      - .address_space:  global
        .offset:         8
        .size:           8
        .value_kind:     global_buffer
      - .offset:         16
        .size:           4
        .value_kind:     by_value
    .group_segment_fixed_size: 4096
    .kernarg_segment_align: 8
    .kernarg_segment_size: 20
    .language:       OpenCL C
    .language_version:
      - 2
      - 0
    .max_flat_workgroup_size: 256
    .name:           _Z6kernelI14subtract_rightLj256ELj4ELb1EJPxS1_jEEvDpT3_
    .private_segment_fixed_size: 0
    .sgpr_count:     18
    .sgpr_spill_count: 0
    .symbol:         _Z6kernelI14subtract_rightLj256ELj4ELb1EJPxS1_jEEvDpT3_.kd
    .uniform_work_group_size: 1
    .uses_dynamic_stack: false
    .vgpr_count:     16
    .vgpr_spill_count: 0
    .wavefront_size: 32
    .workgroup_processor_mode: 1
  - .args:
      - .address_space:  global
        .offset:         0
        .size:           8
        .value_kind:     global_buffer
      - .address_space:  global
        .offset:         8
        .size:           8
        .value_kind:     global_buffer
      - .offset:         16
        .size:           4
        .value_kind:     by_value
    .group_segment_fixed_size: 4096
    .kernarg_segment_align: 8
    .kernarg_segment_size: 20
    .language:       OpenCL C
    .language_version:
      - 2
      - 0
    .max_flat_workgroup_size: 256
    .name:           _Z6kernelI14subtract_rightLj256ELj8ELb1EJPxS1_jEEvDpT3_
    .private_segment_fixed_size: 0
    .sgpr_count:     18
    .sgpr_spill_count: 0
    .symbol:         _Z6kernelI14subtract_rightLj256ELj8ELb1EJPxS1_jEEvDpT3_.kd
    .uniform_work_group_size: 1
    .uses_dynamic_stack: false
    .vgpr_count:     34
    .vgpr_spill_count: 0
    .wavefront_size: 32
    .workgroup_processor_mode: 1
  - .args:
      - .address_space:  global
        .offset:         0
        .size:           8
        .value_kind:     global_buffer
      - .address_space:  global
        .offset:         8
        .size:           8
        .value_kind:     global_buffer
      - .offset:         16
        .size:           4
        .value_kind:     by_value
    .group_segment_fixed_size: 4096
    .kernarg_segment_align: 8
    .kernarg_segment_size: 20
    .language:       OpenCL C
    .language_version:
      - 2
      - 0
    .max_flat_workgroup_size: 256
    .name:           _Z6kernelI14subtract_rightLj256ELj16ELb1EJPxS1_jEEvDpT3_
    .private_segment_fixed_size: 0
    .sgpr_count:     18
    .sgpr_spill_count: 0
    .symbol:         _Z6kernelI14subtract_rightLj256ELj16ELb1EJPxS1_jEEvDpT3_.kd
    .uniform_work_group_size: 1
    .uses_dynamic_stack: false
    .vgpr_count:     66
    .vgpr_spill_count: 0
    .wavefront_size: 32
    .workgroup_processor_mode: 1
  - .args:
      - .address_space:  global
        .offset:         0
        .size:           8
        .value_kind:     global_buffer
      - .address_space:  global
        .offset:         8
        .size:           8
        .value_kind:     global_buffer
      - .offset:         16
        .size:           4
        .value_kind:     by_value
    .group_segment_fixed_size: 4096
    .kernarg_segment_align: 8
    .kernarg_segment_size: 20
    .language:       OpenCL C
    .language_version:
      - 2
      - 0
    .max_flat_workgroup_size: 256
    .name:           _Z6kernelI14subtract_rightLj256ELj32ELb1EJPxS1_jEEvDpT3_
    .private_segment_fixed_size: 0
    .sgpr_count:     18
    .sgpr_spill_count: 0
    .symbol:         _Z6kernelI14subtract_rightLj256ELj32ELb1EJPxS1_jEEvDpT3_.kd
    .uniform_work_group_size: 1
    .uses_dynamic_stack: false
    .vgpr_count:     94
    .vgpr_spill_count: 0
    .wavefront_size: 32
    .workgroup_processor_mode: 1
  - .args:
      - .address_space:  global
        .offset:         0
        .size:           8
        .value_kind:     global_buffer
      - .address_space:  global
        .offset:         8
        .size:           8
        .value_kind:     global_buffer
      - .offset:         16
        .size:           4
        .value_kind:     by_value
    .group_segment_fixed_size: 4096
    .kernarg_segment_align: 8
    .kernarg_segment_size: 20
    .language:       OpenCL C
    .language_version:
      - 2
      - 0
    .max_flat_workgroup_size: 256
    .name:           _Z6kernelI14subtract_rightLj256ELj1ELb1EJPdS1_jEEvDpT3_
    .private_segment_fixed_size: 0
    .sgpr_count:     18
    .sgpr_spill_count: 0
    .symbol:         _Z6kernelI14subtract_rightLj256ELj1ELb1EJPdS1_jEEvDpT3_.kd
    .uniform_work_group_size: 1
    .uses_dynamic_stack: false
    .vgpr_count:     6
    .vgpr_spill_count: 0
    .wavefront_size: 32
    .workgroup_processor_mode: 1
  - .args:
      - .address_space:  global
        .offset:         0
        .size:           8
        .value_kind:     global_buffer
      - .address_space:  global
        .offset:         8
        .size:           8
        .value_kind:     global_buffer
      - .offset:         16
        .size:           4
        .value_kind:     by_value
    .group_segment_fixed_size: 4096
    .kernarg_segment_align: 8
    .kernarg_segment_size: 20
    .language:       OpenCL C
    .language_version:
      - 2
      - 0
    .max_flat_workgroup_size: 256
    .name:           _Z6kernelI14subtract_rightLj256ELj3ELb1EJPdS1_jEEvDpT3_
    .private_segment_fixed_size: 0
    .sgpr_count:     18
    .sgpr_spill_count: 0
    .symbol:         _Z6kernelI14subtract_rightLj256ELj3ELb1EJPdS1_jEEvDpT3_.kd
    .uniform_work_group_size: 1
    .uses_dynamic_stack: false
    .vgpr_count:     14
    .vgpr_spill_count: 0
    .wavefront_size: 32
    .workgroup_processor_mode: 1
  - .args:
      - .address_space:  global
        .offset:         0
        .size:           8
        .value_kind:     global_buffer
      - .address_space:  global
        .offset:         8
        .size:           8
        .value_kind:     global_buffer
      - .offset:         16
        .size:           4
        .value_kind:     by_value
    .group_segment_fixed_size: 4096
    .kernarg_segment_align: 8
    .kernarg_segment_size: 20
    .language:       OpenCL C
    .language_version:
      - 2
      - 0
    .max_flat_workgroup_size: 256
    .name:           _Z6kernelI14subtract_rightLj256ELj4ELb1EJPdS1_jEEvDpT3_
    .private_segment_fixed_size: 0
    .sgpr_count:     18
    .sgpr_spill_count: 0
    .symbol:         _Z6kernelI14subtract_rightLj256ELj4ELb1EJPdS1_jEEvDpT3_.kd
    .uniform_work_group_size: 1
    .uses_dynamic_stack: false
    .vgpr_count:     18
    .vgpr_spill_count: 0
    .wavefront_size: 32
    .workgroup_processor_mode: 1
  - .args:
      - .address_space:  global
        .offset:         0
        .size:           8
        .value_kind:     global_buffer
      - .address_space:  global
        .offset:         8
        .size:           8
        .value_kind:     global_buffer
      - .offset:         16
        .size:           4
        .value_kind:     by_value
    .group_segment_fixed_size: 4096
    .kernarg_segment_align: 8
    .kernarg_segment_size: 20
    .language:       OpenCL C
    .language_version:
      - 2
      - 0
    .max_flat_workgroup_size: 256
    .name:           _Z6kernelI14subtract_rightLj256ELj8ELb1EJPdS1_jEEvDpT3_
    .private_segment_fixed_size: 0
    .sgpr_count:     18
    .sgpr_spill_count: 0
    .symbol:         _Z6kernelI14subtract_rightLj256ELj8ELb1EJPdS1_jEEvDpT3_.kd
    .uniform_work_group_size: 1
    .uses_dynamic_stack: false
    .vgpr_count:     34
    .vgpr_spill_count: 0
    .wavefront_size: 32
    .workgroup_processor_mode: 1
  - .args:
      - .address_space:  global
        .offset:         0
        .size:           8
        .value_kind:     global_buffer
      - .address_space:  global
        .offset:         8
        .size:           8
        .value_kind:     global_buffer
      - .offset:         16
        .size:           4
        .value_kind:     by_value
    .group_segment_fixed_size: 4096
    .kernarg_segment_align: 8
    .kernarg_segment_size: 20
    .language:       OpenCL C
    .language_version:
      - 2
      - 0
    .max_flat_workgroup_size: 256
    .name:           _Z6kernelI14subtract_rightLj256ELj16ELb1EJPdS1_jEEvDpT3_
    .private_segment_fixed_size: 0
    .sgpr_count:     18
    .sgpr_spill_count: 0
    .symbol:         _Z6kernelI14subtract_rightLj256ELj16ELb1EJPdS1_jEEvDpT3_.kd
    .uniform_work_group_size: 1
    .uses_dynamic_stack: false
    .vgpr_count:     66
    .vgpr_spill_count: 0
    .wavefront_size: 32
    .workgroup_processor_mode: 1
  - .args:
      - .address_space:  global
        .offset:         0
        .size:           8
        .value_kind:     global_buffer
      - .address_space:  global
        .offset:         8
        .size:           8
        .value_kind:     global_buffer
      - .offset:         16
        .size:           4
        .value_kind:     by_value
    .group_segment_fixed_size: 4096
    .kernarg_segment_align: 8
    .kernarg_segment_size: 20
    .language:       OpenCL C
    .language_version:
      - 2
      - 0
    .max_flat_workgroup_size: 256
    .name:           _Z6kernelI14subtract_rightLj256ELj32ELb1EJPdS1_jEEvDpT3_
    .private_segment_fixed_size: 0
    .sgpr_count:     18
    .sgpr_spill_count: 0
    .symbol:         _Z6kernelI14subtract_rightLj256ELj32ELb1EJPdS1_jEEvDpT3_.kd
    .uniform_work_group_size: 1
    .uses_dynamic_stack: false
    .vgpr_count:     94
    .vgpr_spill_count: 0
    .wavefront_size: 32
    .workgroup_processor_mode: 1
  - .args:
      - .address_space:  global
        .offset:         0
        .size:           8
        .value_kind:     global_buffer
      - .address_space:  global
        .offset:         8
        .size:           8
        .value_kind:     global_buffer
      - .address_space:  global
        .offset:         16
        .size:           8
        .value_kind:     global_buffer
      - .offset:         24
        .size:           4
        .value_kind:     by_value
    .group_segment_fixed_size: 2048
    .kernarg_segment_align: 8
    .kernarg_segment_size: 28
    .language:       OpenCL C
    .language_version:
      - 2
      - 0
    .max_flat_workgroup_size: 256
    .name:           _Z6kernelI26subtract_left_partial_tileLj256ELj1ELb0EJPiS1_S1_jEEvDpT3_
    .private_segment_fixed_size: 0
    .sgpr_count:     18
    .sgpr_spill_count: 0
    .symbol:         _Z6kernelI26subtract_left_partial_tileLj256ELj1ELb0EJPiS1_S1_jEEvDpT3_.kd
    .uniform_work_group_size: 1
    .uses_dynamic_stack: false
    .vgpr_count:     5
    .vgpr_spill_count: 0
    .wavefront_size: 32
    .workgroup_processor_mode: 1
  - .args:
      - .address_space:  global
        .offset:         0
        .size:           8
        .value_kind:     global_buffer
      - .address_space:  global
        .offset:         8
        .size:           8
        .value_kind:     global_buffer
      - .address_space:  global
        .offset:         16
        .size:           8
        .value_kind:     global_buffer
      - .offset:         24
        .size:           4
        .value_kind:     by_value
    .group_segment_fixed_size: 2048
    .kernarg_segment_align: 8
    .kernarg_segment_size: 28
    .language:       OpenCL C
    .language_version:
      - 2
      - 0
    .max_flat_workgroup_size: 256
    .name:           _Z6kernelI26subtract_left_partial_tileLj256ELj3ELb0EJPiS1_S1_jEEvDpT3_
    .private_segment_fixed_size: 0
    .sgpr_count:     18
    .sgpr_spill_count: 0
    .symbol:         _Z6kernelI26subtract_left_partial_tileLj256ELj3ELb0EJPiS1_S1_jEEvDpT3_.kd
    .uniform_work_group_size: 1
    .uses_dynamic_stack: false
    .vgpr_count:     12
    .vgpr_spill_count: 0
    .wavefront_size: 32
    .workgroup_processor_mode: 1
  - .args:
      - .address_space:  global
        .offset:         0
        .size:           8
        .value_kind:     global_buffer
      - .address_space:  global
        .offset:         8
        .size:           8
        .value_kind:     global_buffer
      - .address_space:  global
        .offset:         16
        .size:           8
        .value_kind:     global_buffer
      - .offset:         24
        .size:           4
        .value_kind:     by_value
    .group_segment_fixed_size: 2048
    .kernarg_segment_align: 8
    .kernarg_segment_size: 28
    .language:       OpenCL C
    .language_version:
      - 2
      - 0
    .max_flat_workgroup_size: 256
    .name:           _Z6kernelI26subtract_left_partial_tileLj256ELj4ELb0EJPiS1_S1_jEEvDpT3_
    .private_segment_fixed_size: 0
    .sgpr_count:     18
    .sgpr_spill_count: 0
    .symbol:         _Z6kernelI26subtract_left_partial_tileLj256ELj4ELb0EJPiS1_S1_jEEvDpT3_.kd
    .uniform_work_group_size: 1
    .uses_dynamic_stack: false
    .vgpr_count:     14
    .vgpr_spill_count: 0
    .wavefront_size: 32
    .workgroup_processor_mode: 1
  - .args:
      - .address_space:  global
        .offset:         0
        .size:           8
        .value_kind:     global_buffer
      - .address_space:  global
        .offset:         8
        .size:           8
        .value_kind:     global_buffer
      - .address_space:  global
        .offset:         16
        .size:           8
        .value_kind:     global_buffer
      - .offset:         24
        .size:           4
        .value_kind:     by_value
    .group_segment_fixed_size: 2048
    .kernarg_segment_align: 8
    .kernarg_segment_size: 28
    .language:       OpenCL C
    .language_version:
      - 2
      - 0
    .max_flat_workgroup_size: 256
    .name:           _Z6kernelI26subtract_left_partial_tileLj256ELj8ELb0EJPiS1_S1_jEEvDpT3_
    .private_segment_fixed_size: 0
    .sgpr_count:     18
    .sgpr_spill_count: 0
    .symbol:         _Z6kernelI26subtract_left_partial_tileLj256ELj8ELb0EJPiS1_S1_jEEvDpT3_.kd
    .uniform_work_group_size: 1
    .uses_dynamic_stack: false
    .vgpr_count:     27
    .vgpr_spill_count: 0
    .wavefront_size: 32
    .workgroup_processor_mode: 1
  - .args:
      - .address_space:  global
        .offset:         0
        .size:           8
        .value_kind:     global_buffer
      - .address_space:  global
        .offset:         8
        .size:           8
        .value_kind:     global_buffer
      - .address_space:  global
        .offset:         16
        .size:           8
        .value_kind:     global_buffer
      - .offset:         24
        .size:           4
        .value_kind:     by_value
    .group_segment_fixed_size: 2048
    .kernarg_segment_align: 8
    .kernarg_segment_size: 28
    .language:       OpenCL C
    .language_version:
      - 2
      - 0
    .max_flat_workgroup_size: 256
    .name:           _Z6kernelI26subtract_left_partial_tileLj256ELj16ELb0EJPiS1_S1_jEEvDpT3_
    .private_segment_fixed_size: 0
    .sgpr_count:     18
    .sgpr_spill_count: 0
    .symbol:         _Z6kernelI26subtract_left_partial_tileLj256ELj16ELb0EJPiS1_S1_jEEvDpT3_.kd
    .uniform_work_group_size: 1
    .uses_dynamic_stack: false
    .vgpr_count:     51
    .vgpr_spill_count: 0
    .wavefront_size: 32
    .workgroup_processor_mode: 1
  - .args:
      - .address_space:  global
        .offset:         0
        .size:           8
        .value_kind:     global_buffer
      - .address_space:  global
        .offset:         8
        .size:           8
        .value_kind:     global_buffer
      - .address_space:  global
        .offset:         16
        .size:           8
        .value_kind:     global_buffer
      - .offset:         24
        .size:           4
        .value_kind:     by_value
    .group_segment_fixed_size: 2048
    .kernarg_segment_align: 8
    .kernarg_segment_size: 28
    .language:       OpenCL C
    .language_version:
      - 2
      - 0
    .max_flat_workgroup_size: 256
    .name:           _Z6kernelI26subtract_left_partial_tileLj256ELj32ELb0EJPiS1_S1_jEEvDpT3_
    .private_segment_fixed_size: 0
    .sgpr_count:     18
    .sgpr_spill_count: 0
    .symbol:         _Z6kernelI26subtract_left_partial_tileLj256ELj32ELb0EJPiS1_S1_jEEvDpT3_.kd
    .uniform_work_group_size: 1
    .uses_dynamic_stack: false
    .vgpr_count:     91
    .vgpr_spill_count: 0
    .wavefront_size: 32
    .workgroup_processor_mode: 1
  - .args:
      - .address_space:  global
        .offset:         0
        .size:           8
        .value_kind:     global_buffer
      - .address_space:  global
        .offset:         8
        .size:           8
        .value_kind:     global_buffer
      - .address_space:  global
        .offset:         16
        .size:           8
        .value_kind:     global_buffer
      - .offset:         24
        .size:           4
        .value_kind:     by_value
    .group_segment_fixed_size: 2048
    .kernarg_segment_align: 8
    .kernarg_segment_size: 28
    .language:       OpenCL C
    .language_version:
      - 2
      - 0
    .max_flat_workgroup_size: 256
    .name:           _Z6kernelI26subtract_left_partial_tileLj256ELj1ELb0EJPfPiS1_jEEvDpT3_
    .private_segment_fixed_size: 0
    .sgpr_count:     18
    .sgpr_spill_count: 0
    .symbol:         _Z6kernelI26subtract_left_partial_tileLj256ELj1ELb0EJPfPiS1_jEEvDpT3_.kd
    .uniform_work_group_size: 1
    .uses_dynamic_stack: false
    .vgpr_count:     5
    .vgpr_spill_count: 0
    .wavefront_size: 32
    .workgroup_processor_mode: 1
  - .args:
      - .address_space:  global
        .offset:         0
        .size:           8
        .value_kind:     global_buffer
      - .address_space:  global
        .offset:         8
        .size:           8
        .value_kind:     global_buffer
      - .address_space:  global
        .offset:         16
        .size:           8
        .value_kind:     global_buffer
      - .offset:         24
        .size:           4
        .value_kind:     by_value
    .group_segment_fixed_size: 2048
    .kernarg_segment_align: 8
    .kernarg_segment_size: 28
    .language:       OpenCL C
    .language_version:
      - 2
      - 0
    .max_flat_workgroup_size: 256
    .name:           _Z6kernelI26subtract_left_partial_tileLj256ELj3ELb0EJPfPiS1_jEEvDpT3_
    .private_segment_fixed_size: 0
    .sgpr_count:     18
    .sgpr_spill_count: 0
    .symbol:         _Z6kernelI26subtract_left_partial_tileLj256ELj3ELb0EJPfPiS1_jEEvDpT3_.kd
    .uniform_work_group_size: 1
    .uses_dynamic_stack: false
    .vgpr_count:     12
    .vgpr_spill_count: 0
    .wavefront_size: 32
    .workgroup_processor_mode: 1
  - .args:
      - .address_space:  global
        .offset:         0
        .size:           8
        .value_kind:     global_buffer
      - .address_space:  global
        .offset:         8
        .size:           8
        .value_kind:     global_buffer
      - .address_space:  global
        .offset:         16
        .size:           8
        .value_kind:     global_buffer
      - .offset:         24
        .size:           4
        .value_kind:     by_value
    .group_segment_fixed_size: 2048
    .kernarg_segment_align: 8
    .kernarg_segment_size: 28
    .language:       OpenCL C
    .language_version:
      - 2
      - 0
    .max_flat_workgroup_size: 256
    .name:           _Z6kernelI26subtract_left_partial_tileLj256ELj4ELb0EJPfPiS1_jEEvDpT3_
    .private_segment_fixed_size: 0
    .sgpr_count:     18
    .sgpr_spill_count: 0
    .symbol:         _Z6kernelI26subtract_left_partial_tileLj256ELj4ELb0EJPfPiS1_jEEvDpT3_.kd
    .uniform_work_group_size: 1
    .uses_dynamic_stack: false
    .vgpr_count:     14
    .vgpr_spill_count: 0
    .wavefront_size: 32
    .workgroup_processor_mode: 1
  - .args:
      - .address_space:  global
        .offset:         0
        .size:           8
        .value_kind:     global_buffer
      - .address_space:  global
        .offset:         8
        .size:           8
        .value_kind:     global_buffer
      - .address_space:  global
        .offset:         16
        .size:           8
        .value_kind:     global_buffer
      - .offset:         24
        .size:           4
        .value_kind:     by_value
    .group_segment_fixed_size: 2048
    .kernarg_segment_align: 8
    .kernarg_segment_size: 28
    .language:       OpenCL C
    .language_version:
      - 2
      - 0
    .max_flat_workgroup_size: 256
    .name:           _Z6kernelI26subtract_left_partial_tileLj256ELj8ELb0EJPfPiS1_jEEvDpT3_
    .private_segment_fixed_size: 0
    .sgpr_count:     18
    .sgpr_spill_count: 0
    .symbol:         _Z6kernelI26subtract_left_partial_tileLj256ELj8ELb0EJPfPiS1_jEEvDpT3_.kd
    .uniform_work_group_size: 1
    .uses_dynamic_stack: false
    .vgpr_count:     27
    .vgpr_spill_count: 0
    .wavefront_size: 32
    .workgroup_processor_mode: 1
  - .args:
      - .address_space:  global
        .offset:         0
        .size:           8
        .value_kind:     global_buffer
      - .address_space:  global
        .offset:         8
        .size:           8
        .value_kind:     global_buffer
      - .address_space:  global
        .offset:         16
        .size:           8
        .value_kind:     global_buffer
      - .offset:         24
        .size:           4
        .value_kind:     by_value
    .group_segment_fixed_size: 2048
    .kernarg_segment_align: 8
    .kernarg_segment_size: 28
    .language:       OpenCL C
    .language_version:
      - 2
      - 0
    .max_flat_workgroup_size: 256
    .name:           _Z6kernelI26subtract_left_partial_tileLj256ELj16ELb0EJPfPiS1_jEEvDpT3_
    .private_segment_fixed_size: 0
    .sgpr_count:     18
    .sgpr_spill_count: 0
    .symbol:         _Z6kernelI26subtract_left_partial_tileLj256ELj16ELb0EJPfPiS1_jEEvDpT3_.kd
    .uniform_work_group_size: 1
    .uses_dynamic_stack: false
    .vgpr_count:     51
    .vgpr_spill_count: 0
    .wavefront_size: 32
    .workgroup_processor_mode: 1
  - .args:
      - .address_space:  global
        .offset:         0
        .size:           8
        .value_kind:     global_buffer
      - .address_space:  global
        .offset:         8
        .size:           8
        .value_kind:     global_buffer
      - .address_space:  global
        .offset:         16
        .size:           8
        .value_kind:     global_buffer
      - .offset:         24
        .size:           4
        .value_kind:     by_value
    .group_segment_fixed_size: 2048
    .kernarg_segment_align: 8
    .kernarg_segment_size: 28
    .language:       OpenCL C
    .language_version:
      - 2
      - 0
    .max_flat_workgroup_size: 256
    .name:           _Z6kernelI26subtract_left_partial_tileLj256ELj32ELb0EJPfPiS1_jEEvDpT3_
    .private_segment_fixed_size: 0
    .sgpr_count:     18
    .sgpr_spill_count: 0
    .symbol:         _Z6kernelI26subtract_left_partial_tileLj256ELj32ELb0EJPfPiS1_jEEvDpT3_.kd
    .uniform_work_group_size: 1
    .uses_dynamic_stack: false
    .vgpr_count:     90
    .vgpr_spill_count: 0
    .wavefront_size: 32
    .workgroup_processor_mode: 1
  - .args:
      - .address_space:  global
        .offset:         0
        .size:           8
        .value_kind:     global_buffer
      - .address_space:  global
        .offset:         8
        .size:           8
        .value_kind:     global_buffer
      - .address_space:  global
        .offset:         16
        .size:           8
        .value_kind:     global_buffer
      - .offset:         24
        .size:           4
        .value_kind:     by_value
    .group_segment_fixed_size: 512
    .kernarg_segment_align: 8
    .kernarg_segment_size: 28
    .language:       OpenCL C
    .language_version:
      - 2
      - 0
    .max_flat_workgroup_size: 256
    .name:           _Z6kernelI26subtract_left_partial_tileLj256ELj1ELb0EJPaPiS1_jEEvDpT3_
    .private_segment_fixed_size: 0
    .sgpr_count:     18
    .sgpr_spill_count: 0
    .symbol:         _Z6kernelI26subtract_left_partial_tileLj256ELj1ELb0EJPaPiS1_jEEvDpT3_.kd
    .uniform_work_group_size: 1
    .uses_dynamic_stack: false
    .vgpr_count:     4
    .vgpr_spill_count: 0
    .wavefront_size: 32
    .workgroup_processor_mode: 1
  - .args:
      - .address_space:  global
        .offset:         0
        .size:           8
        .value_kind:     global_buffer
      - .address_space:  global
        .offset:         8
        .size:           8
        .value_kind:     global_buffer
      - .address_space:  global
        .offset:         16
        .size:           8
        .value_kind:     global_buffer
      - .offset:         24
        .size:           4
        .value_kind:     by_value
    .group_segment_fixed_size: 512
    .kernarg_segment_align: 8
    .kernarg_segment_size: 28
    .language:       OpenCL C
    .language_version:
      - 2
      - 0
    .max_flat_workgroup_size: 256
    .name:           _Z6kernelI26subtract_left_partial_tileLj256ELj3ELb0EJPaPiS1_jEEvDpT3_
    .private_segment_fixed_size: 0
    .sgpr_count:     18
    .sgpr_spill_count: 0
    .symbol:         _Z6kernelI26subtract_left_partial_tileLj256ELj3ELb0EJPaPiS1_jEEvDpT3_.kd
    .uniform_work_group_size: 1
    .uses_dynamic_stack: false
    .vgpr_count:     13
    .vgpr_spill_count: 0
    .wavefront_size: 32
    .workgroup_processor_mode: 1
  - .args:
      - .address_space:  global
        .offset:         0
        .size:           8
        .value_kind:     global_buffer
      - .address_space:  global
        .offset:         8
        .size:           8
        .value_kind:     global_buffer
      - .address_space:  global
        .offset:         16
        .size:           8
        .value_kind:     global_buffer
      - .offset:         24
        .size:           4
        .value_kind:     by_value
    .group_segment_fixed_size: 512
    .kernarg_segment_align: 8
    .kernarg_segment_size: 28
    .language:       OpenCL C
    .language_version:
      - 2
      - 0
    .max_flat_workgroup_size: 256
    .name:           _Z6kernelI26subtract_left_partial_tileLj256ELj4ELb0EJPaPiS1_jEEvDpT3_
    .private_segment_fixed_size: 0
    .sgpr_count:     18
    .sgpr_spill_count: 0
    .symbol:         _Z6kernelI26subtract_left_partial_tileLj256ELj4ELb0EJPaPiS1_jEEvDpT3_.kd
    .uniform_work_group_size: 1
    .uses_dynamic_stack: false
    .vgpr_count:     15
    .vgpr_spill_count: 0
    .wavefront_size: 32
    .workgroup_processor_mode: 1
  - .args:
      - .address_space:  global
        .offset:         0
        .size:           8
        .value_kind:     global_buffer
      - .address_space:  global
        .offset:         8
        .size:           8
        .value_kind:     global_buffer
      - .address_space:  global
        .offset:         16
        .size:           8
        .value_kind:     global_buffer
      - .offset:         24
        .size:           4
        .value_kind:     by_value
    .group_segment_fixed_size: 512
    .kernarg_segment_align: 8
    .kernarg_segment_size: 28
    .language:       OpenCL C
    .language_version:
      - 2
      - 0
    .max_flat_workgroup_size: 256
    .name:           _Z6kernelI26subtract_left_partial_tileLj256ELj8ELb0EJPaPiS1_jEEvDpT3_
    .private_segment_fixed_size: 0
    .sgpr_count:     18
    .sgpr_spill_count: 0
    .symbol:         _Z6kernelI26subtract_left_partial_tileLj256ELj8ELb0EJPaPiS1_jEEvDpT3_.kd
    .uniform_work_group_size: 1
    .uses_dynamic_stack: false
    .vgpr_count:     30
    .vgpr_spill_count: 0
    .wavefront_size: 32
    .workgroup_processor_mode: 1
  - .args:
      - .address_space:  global
        .offset:         0
        .size:           8
        .value_kind:     global_buffer
      - .address_space:  global
        .offset:         8
        .size:           8
        .value_kind:     global_buffer
      - .address_space:  global
        .offset:         16
        .size:           8
        .value_kind:     global_buffer
      - .offset:         24
        .size:           4
        .value_kind:     by_value
    .group_segment_fixed_size: 512
    .kernarg_segment_align: 8
    .kernarg_segment_size: 28
    .language:       OpenCL C
    .language_version:
      - 2
      - 0
    .max_flat_workgroup_size: 256
    .name:           _Z6kernelI26subtract_left_partial_tileLj256ELj16ELb0EJPaPiS1_jEEvDpT3_
    .private_segment_fixed_size: 0
    .sgpr_count:     18
    .sgpr_spill_count: 0
    .symbol:         _Z6kernelI26subtract_left_partial_tileLj256ELj16ELb0EJPaPiS1_jEEvDpT3_.kd
    .uniform_work_group_size: 1
    .uses_dynamic_stack: false
    .vgpr_count:     54
    .vgpr_spill_count: 0
    .wavefront_size: 32
    .workgroup_processor_mode: 1
  - .args:
      - .address_space:  global
        .offset:         0
        .size:           8
        .value_kind:     global_buffer
      - .address_space:  global
        .offset:         8
        .size:           8
        .value_kind:     global_buffer
      - .address_space:  global
        .offset:         16
        .size:           8
        .value_kind:     global_buffer
      - .offset:         24
        .size:           4
        .value_kind:     by_value
    .group_segment_fixed_size: 512
    .kernarg_segment_align: 8
    .kernarg_segment_size: 28
    .language:       OpenCL C
    .language_version:
      - 2
      - 0
    .max_flat_workgroup_size: 256
    .name:           _Z6kernelI26subtract_left_partial_tileLj256ELj32ELb0EJPaPiS1_jEEvDpT3_
    .private_segment_fixed_size: 0
    .sgpr_count:     18
    .sgpr_spill_count: 0
    .symbol:         _Z6kernelI26subtract_left_partial_tileLj256ELj32ELb0EJPaPiS1_jEEvDpT3_.kd
    .uniform_work_group_size: 1
    .uses_dynamic_stack: false
    .vgpr_count:     95
    .vgpr_spill_count: 0
    .wavefront_size: 32
    .workgroup_processor_mode: 1
  - .args:
      - .address_space:  global
        .offset:         0
        .size:           8
        .value_kind:     global_buffer
      - .address_space:  global
        .offset:         8
        .size:           8
        .value_kind:     global_buffer
      - .address_space:  global
        .offset:         16
        .size:           8
        .value_kind:     global_buffer
      - .offset:         24
        .size:           4
        .value_kind:     by_value
    .group_segment_fixed_size: 4096
    .kernarg_segment_align: 8
    .kernarg_segment_size: 28
    .language:       OpenCL C
    .language_version:
      - 2
      - 0
    .max_flat_workgroup_size: 256
    .name:           _Z6kernelI26subtract_left_partial_tileLj256ELj1ELb0EJPxPiS1_jEEvDpT3_
    .private_segment_fixed_size: 0
    .sgpr_count:     18
    .sgpr_spill_count: 0
    .symbol:         _Z6kernelI26subtract_left_partial_tileLj256ELj1ELb0EJPxPiS1_jEEvDpT3_.kd
    .uniform_work_group_size: 1
    .uses_dynamic_stack: false
    .vgpr_count:     7
    .vgpr_spill_count: 0
    .wavefront_size: 32
    .workgroup_processor_mode: 1
  - .args:
      - .address_space:  global
        .offset:         0
        .size:           8
        .value_kind:     global_buffer
      - .address_space:  global
        .offset:         8
        .size:           8
        .value_kind:     global_buffer
      - .address_space:  global
        .offset:         16
        .size:           8
        .value_kind:     global_buffer
      - .offset:         24
        .size:           4
        .value_kind:     by_value
    .group_segment_fixed_size: 4096
    .kernarg_segment_align: 8
    .kernarg_segment_size: 28
    .language:       OpenCL C
    .language_version:
      - 2
      - 0
    .max_flat_workgroup_size: 256
    .name:           _Z6kernelI26subtract_left_partial_tileLj256ELj3ELb0EJPxPiS1_jEEvDpT3_
    .private_segment_fixed_size: 0
    .sgpr_count:     18
    .sgpr_spill_count: 0
    .symbol:         _Z6kernelI26subtract_left_partial_tileLj256ELj3ELb0EJPxPiS1_jEEvDpT3_.kd
    .uniform_work_group_size: 1
    .uses_dynamic_stack: false
    .vgpr_count:     18
    .vgpr_spill_count: 0
    .wavefront_size: 32
    .workgroup_processor_mode: 1
  - .args:
      - .address_space:  global
        .offset:         0
        .size:           8
        .value_kind:     global_buffer
      - .address_space:  global
        .offset:         8
        .size:           8
        .value_kind:     global_buffer
      - .address_space:  global
        .offset:         16
        .size:           8
        .value_kind:     global_buffer
      - .offset:         24
        .size:           4
        .value_kind:     by_value
    .group_segment_fixed_size: 4096
    .kernarg_segment_align: 8
    .kernarg_segment_size: 28
    .language:       OpenCL C
    .language_version:
      - 2
      - 0
    .max_flat_workgroup_size: 256
    .name:           _Z6kernelI26subtract_left_partial_tileLj256ELj4ELb0EJPxPiS1_jEEvDpT3_
    .private_segment_fixed_size: 0
    .sgpr_count:     18
    .sgpr_spill_count: 0
    .symbol:         _Z6kernelI26subtract_left_partial_tileLj256ELj4ELb0EJPxPiS1_jEEvDpT3_.kd
    .uniform_work_group_size: 1
    .uses_dynamic_stack: false
    .vgpr_count:     23
    .vgpr_spill_count: 0
    .wavefront_size: 32
    .workgroup_processor_mode: 1
  - .args:
      - .address_space:  global
        .offset:         0
        .size:           8
        .value_kind:     global_buffer
      - .address_space:  global
        .offset:         8
        .size:           8
        .value_kind:     global_buffer
      - .address_space:  global
        .offset:         16
        .size:           8
        .value_kind:     global_buffer
      - .offset:         24
        .size:           4
        .value_kind:     by_value
    .group_segment_fixed_size: 4096
    .kernarg_segment_align: 8
    .kernarg_segment_size: 28
    .language:       OpenCL C
    .language_version:
      - 2
      - 0
    .max_flat_workgroup_size: 256
    .name:           _Z6kernelI26subtract_left_partial_tileLj256ELj8ELb0EJPxPiS1_jEEvDpT3_
    .private_segment_fixed_size: 0
    .sgpr_count:     18
    .sgpr_spill_count: 0
    .symbol:         _Z6kernelI26subtract_left_partial_tileLj256ELj8ELb0EJPxPiS1_jEEvDpT3_.kd
    .uniform_work_group_size: 1
    .uses_dynamic_stack: false
    .vgpr_count:     42
    .vgpr_spill_count: 0
    .wavefront_size: 32
    .workgroup_processor_mode: 1
  - .args:
      - .address_space:  global
        .offset:         0
        .size:           8
        .value_kind:     global_buffer
      - .address_space:  global
        .offset:         8
        .size:           8
        .value_kind:     global_buffer
      - .address_space:  global
        .offset:         16
        .size:           8
        .value_kind:     global_buffer
      - .offset:         24
        .size:           4
        .value_kind:     by_value
    .group_segment_fixed_size: 4096
    .kernarg_segment_align: 8
    .kernarg_segment_size: 28
    .language:       OpenCL C
    .language_version:
      - 2
      - 0
    .max_flat_workgroup_size: 256
    .name:           _Z6kernelI26subtract_left_partial_tileLj256ELj16ELb0EJPxPiS1_jEEvDpT3_
    .private_segment_fixed_size: 0
    .sgpr_count:     18
    .sgpr_spill_count: 0
    .symbol:         _Z6kernelI26subtract_left_partial_tileLj256ELj16ELb0EJPxPiS1_jEEvDpT3_.kd
    .uniform_work_group_size: 1
    .uses_dynamic_stack: false
    .vgpr_count:     83
    .vgpr_spill_count: 0
    .wavefront_size: 32
    .workgroup_processor_mode: 1
  - .args:
      - .address_space:  global
        .offset:         0
        .size:           8
        .value_kind:     global_buffer
      - .address_space:  global
        .offset:         8
        .size:           8
        .value_kind:     global_buffer
      - .address_space:  global
        .offset:         16
        .size:           8
        .value_kind:     global_buffer
      - .offset:         24
        .size:           4
        .value_kind:     by_value
    .group_segment_fixed_size: 4096
    .kernarg_segment_align: 8
    .kernarg_segment_size: 28
    .language:       OpenCL C
    .language_version:
      - 2
      - 0
    .max_flat_workgroup_size: 256
    .name:           _Z6kernelI26subtract_left_partial_tileLj256ELj32ELb0EJPxPiS1_jEEvDpT3_
    .private_segment_fixed_size: 0
    .sgpr_count:     18
    .sgpr_spill_count: 0
    .symbol:         _Z6kernelI26subtract_left_partial_tileLj256ELj32ELb0EJPxPiS1_jEEvDpT3_.kd
    .uniform_work_group_size: 1
    .uses_dynamic_stack: false
    .vgpr_count:     114
    .vgpr_spill_count: 0
    .wavefront_size: 32
    .workgroup_processor_mode: 1
  - .args:
      - .address_space:  global
        .offset:         0
        .size:           8
        .value_kind:     global_buffer
      - .address_space:  global
        .offset:         8
        .size:           8
        .value_kind:     global_buffer
      - .address_space:  global
        .offset:         16
        .size:           8
        .value_kind:     global_buffer
      - .offset:         24
        .size:           4
        .value_kind:     by_value
    .group_segment_fixed_size: 4096
    .kernarg_segment_align: 8
    .kernarg_segment_size: 28
    .language:       OpenCL C
    .language_version:
      - 2
      - 0
    .max_flat_workgroup_size: 256
    .name:           _Z6kernelI26subtract_left_partial_tileLj256ELj1ELb0EJPdPiS1_jEEvDpT3_
    .private_segment_fixed_size: 0
    .sgpr_count:     18
    .sgpr_spill_count: 0
    .symbol:         _Z6kernelI26subtract_left_partial_tileLj256ELj1ELb0EJPdPiS1_jEEvDpT3_.kd
    .uniform_work_group_size: 1
    .uses_dynamic_stack: false
    .vgpr_count:     7
    .vgpr_spill_count: 0
    .wavefront_size: 32
    .workgroup_processor_mode: 1
  - .args:
      - .address_space:  global
        .offset:         0
        .size:           8
        .value_kind:     global_buffer
      - .address_space:  global
        .offset:         8
        .size:           8
        .value_kind:     global_buffer
      - .address_space:  global
        .offset:         16
        .size:           8
        .value_kind:     global_buffer
      - .offset:         24
        .size:           4
        .value_kind:     by_value
    .group_segment_fixed_size: 4096
    .kernarg_segment_align: 8
    .kernarg_segment_size: 28
    .language:       OpenCL C
    .language_version:
      - 2
      - 0
    .max_flat_workgroup_size: 256
    .name:           _Z6kernelI26subtract_left_partial_tileLj256ELj3ELb0EJPdPiS1_jEEvDpT3_
    .private_segment_fixed_size: 0
    .sgpr_count:     18
    .sgpr_spill_count: 0
    .symbol:         _Z6kernelI26subtract_left_partial_tileLj256ELj3ELb0EJPdPiS1_jEEvDpT3_.kd
    .uniform_work_group_size: 1
    .uses_dynamic_stack: false
    .vgpr_count:     18
    .vgpr_spill_count: 0
    .wavefront_size: 32
    .workgroup_processor_mode: 1
  - .args:
      - .address_space:  global
        .offset:         0
        .size:           8
        .value_kind:     global_buffer
      - .address_space:  global
        .offset:         8
        .size:           8
        .value_kind:     global_buffer
      - .address_space:  global
        .offset:         16
        .size:           8
        .value_kind:     global_buffer
      - .offset:         24
        .size:           4
        .value_kind:     by_value
    .group_segment_fixed_size: 4096
    .kernarg_segment_align: 8
    .kernarg_segment_size: 28
    .language:       OpenCL C
    .language_version:
      - 2
      - 0
    .max_flat_workgroup_size: 256
    .name:           _Z6kernelI26subtract_left_partial_tileLj256ELj4ELb0EJPdPiS1_jEEvDpT3_
    .private_segment_fixed_size: 0
    .sgpr_count:     18
    .sgpr_spill_count: 0
    .symbol:         _Z6kernelI26subtract_left_partial_tileLj256ELj4ELb0EJPdPiS1_jEEvDpT3_.kd
    .uniform_work_group_size: 1
    .uses_dynamic_stack: false
    .vgpr_count:     23
    .vgpr_spill_count: 0
    .wavefront_size: 32
    .workgroup_processor_mode: 1
  - .args:
      - .address_space:  global
        .offset:         0
        .size:           8
        .value_kind:     global_buffer
      - .address_space:  global
        .offset:         8
        .size:           8
        .value_kind:     global_buffer
      - .address_space:  global
        .offset:         16
        .size:           8
        .value_kind:     global_buffer
      - .offset:         24
        .size:           4
        .value_kind:     by_value
    .group_segment_fixed_size: 4096
    .kernarg_segment_align: 8
    .kernarg_segment_size: 28
    .language:       OpenCL C
    .language_version:
      - 2
      - 0
    .max_flat_workgroup_size: 256
    .name:           _Z6kernelI26subtract_left_partial_tileLj256ELj8ELb0EJPdPiS1_jEEvDpT3_
    .private_segment_fixed_size: 0
    .sgpr_count:     18
    .sgpr_spill_count: 0
    .symbol:         _Z6kernelI26subtract_left_partial_tileLj256ELj8ELb0EJPdPiS1_jEEvDpT3_.kd
    .uniform_work_group_size: 1
    .uses_dynamic_stack: false
    .vgpr_count:     42
    .vgpr_spill_count: 0
    .wavefront_size: 32
    .workgroup_processor_mode: 1
  - .args:
      - .address_space:  global
        .offset:         0
        .size:           8
        .value_kind:     global_buffer
      - .address_space:  global
        .offset:         8
        .size:           8
        .value_kind:     global_buffer
      - .address_space:  global
        .offset:         16
        .size:           8
        .value_kind:     global_buffer
      - .offset:         24
        .size:           4
        .value_kind:     by_value
    .group_segment_fixed_size: 4096
    .kernarg_segment_align: 8
    .kernarg_segment_size: 28
    .language:       OpenCL C
    .language_version:
      - 2
      - 0
    .max_flat_workgroup_size: 256
    .name:           _Z6kernelI26subtract_left_partial_tileLj256ELj16ELb0EJPdPiS1_jEEvDpT3_
    .private_segment_fixed_size: 0
    .sgpr_count:     18
    .sgpr_spill_count: 0
    .symbol:         _Z6kernelI26subtract_left_partial_tileLj256ELj16ELb0EJPdPiS1_jEEvDpT3_.kd
    .uniform_work_group_size: 1
    .uses_dynamic_stack: false
    .vgpr_count:     83
    .vgpr_spill_count: 0
    .wavefront_size: 32
    .workgroup_processor_mode: 1
  - .args:
      - .address_space:  global
        .offset:         0
        .size:           8
        .value_kind:     global_buffer
      - .address_space:  global
        .offset:         8
        .size:           8
        .value_kind:     global_buffer
      - .address_space:  global
        .offset:         16
        .size:           8
        .value_kind:     global_buffer
      - .offset:         24
        .size:           4
        .value_kind:     by_value
    .group_segment_fixed_size: 4096
    .kernarg_segment_align: 8
    .kernarg_segment_size: 28
    .language:       OpenCL C
    .language_version:
      - 2
      - 0
    .max_flat_workgroup_size: 256
    .name:           _Z6kernelI26subtract_left_partial_tileLj256ELj32ELb0EJPdPiS1_jEEvDpT3_
    .private_segment_fixed_size: 0
    .sgpr_count:     18
    .sgpr_spill_count: 0
    .symbol:         _Z6kernelI26subtract_left_partial_tileLj256ELj32ELb0EJPdPiS1_jEEvDpT3_.kd
    .uniform_work_group_size: 1
    .uses_dynamic_stack: false
    .vgpr_count:     163
    .vgpr_spill_count: 0
    .wavefront_size: 32
    .workgroup_processor_mode: 1
  - .args:
      - .address_space:  global
        .offset:         0
        .size:           8
        .value_kind:     global_buffer
      - .address_space:  global
        .offset:         8
        .size:           8
        .value_kind:     global_buffer
      - .address_space:  global
        .offset:         16
        .size:           8
        .value_kind:     global_buffer
      - .offset:         24
        .size:           4
        .value_kind:     by_value
    .group_segment_fixed_size: 2048
    .kernarg_segment_align: 8
    .kernarg_segment_size: 28
    .language:       OpenCL C
    .language_version:
      - 2
      - 0
    .max_flat_workgroup_size: 256
    .name:           _Z6kernelI26subtract_left_partial_tileLj256ELj1ELb1EJPiS1_S1_jEEvDpT3_
    .private_segment_fixed_size: 0
    .sgpr_count:     18
    .sgpr_spill_count: 0
    .symbol:         _Z6kernelI26subtract_left_partial_tileLj256ELj1ELb1EJPiS1_S1_jEEvDpT3_.kd
    .uniform_work_group_size: 1
    .uses_dynamic_stack: false
    .vgpr_count:     5
    .vgpr_spill_count: 0
    .wavefront_size: 32
    .workgroup_processor_mode: 1
  - .args:
      - .address_space:  global
        .offset:         0
        .size:           8
        .value_kind:     global_buffer
      - .address_space:  global
        .offset:         8
        .size:           8
        .value_kind:     global_buffer
      - .address_space:  global
        .offset:         16
        .size:           8
        .value_kind:     global_buffer
      - .offset:         24
        .size:           4
        .value_kind:     by_value
    .group_segment_fixed_size: 2048
    .kernarg_segment_align: 8
    .kernarg_segment_size: 28
    .language:       OpenCL C
    .language_version:
      - 2
      - 0
    .max_flat_workgroup_size: 256
    .name:           _Z6kernelI26subtract_left_partial_tileLj256ELj3ELb1EJPiS1_S1_jEEvDpT3_
    .private_segment_fixed_size: 0
    .sgpr_count:     18
    .sgpr_spill_count: 0
    .symbol:         _Z6kernelI26subtract_left_partial_tileLj256ELj3ELb1EJPiS1_S1_jEEvDpT3_.kd
    .uniform_work_group_size: 1
    .uses_dynamic_stack: false
    .vgpr_count:     12
    .vgpr_spill_count: 0
    .wavefront_size: 32
    .workgroup_processor_mode: 1
  - .args:
      - .address_space:  global
        .offset:         0
        .size:           8
        .value_kind:     global_buffer
      - .address_space:  global
        .offset:         8
        .size:           8
        .value_kind:     global_buffer
      - .address_space:  global
        .offset:         16
        .size:           8
        .value_kind:     global_buffer
      - .offset:         24
        .size:           4
        .value_kind:     by_value
    .group_segment_fixed_size: 2048
    .kernarg_segment_align: 8
    .kernarg_segment_size: 28
    .language:       OpenCL C
    .language_version:
      - 2
      - 0
    .max_flat_workgroup_size: 256
    .name:           _Z6kernelI26subtract_left_partial_tileLj256ELj4ELb1EJPiS1_S1_jEEvDpT3_
    .private_segment_fixed_size: 0
    .sgpr_count:     18
    .sgpr_spill_count: 0
    .symbol:         _Z6kernelI26subtract_left_partial_tileLj256ELj4ELb1EJPiS1_S1_jEEvDpT3_.kd
    .uniform_work_group_size: 1
    .uses_dynamic_stack: false
    .vgpr_count:     14
    .vgpr_spill_count: 0
    .wavefront_size: 32
    .workgroup_processor_mode: 1
  - .args:
      - .address_space:  global
        .offset:         0
        .size:           8
        .value_kind:     global_buffer
      - .address_space:  global
        .offset:         8
        .size:           8
        .value_kind:     global_buffer
      - .address_space:  global
        .offset:         16
        .size:           8
        .value_kind:     global_buffer
      - .offset:         24
        .size:           4
        .value_kind:     by_value
    .group_segment_fixed_size: 2048
    .kernarg_segment_align: 8
    .kernarg_segment_size: 28
    .language:       OpenCL C
    .language_version:
      - 2
      - 0
    .max_flat_workgroup_size: 256
    .name:           _Z6kernelI26subtract_left_partial_tileLj256ELj8ELb1EJPiS1_S1_jEEvDpT3_
    .private_segment_fixed_size: 0
    .sgpr_count:     18
    .sgpr_spill_count: 0
    .symbol:         _Z6kernelI26subtract_left_partial_tileLj256ELj8ELb1EJPiS1_S1_jEEvDpT3_.kd
    .uniform_work_group_size: 1
    .uses_dynamic_stack: false
    .vgpr_count:     27
    .vgpr_spill_count: 0
    .wavefront_size: 32
    .workgroup_processor_mode: 1
  - .args:
      - .address_space:  global
        .offset:         0
        .size:           8
        .value_kind:     global_buffer
      - .address_space:  global
        .offset:         8
        .size:           8
        .value_kind:     global_buffer
      - .address_space:  global
        .offset:         16
        .size:           8
        .value_kind:     global_buffer
      - .offset:         24
        .size:           4
        .value_kind:     by_value
    .group_segment_fixed_size: 2048
    .kernarg_segment_align: 8
    .kernarg_segment_size: 28
    .language:       OpenCL C
    .language_version:
      - 2
      - 0
    .max_flat_workgroup_size: 256
    .name:           _Z6kernelI26subtract_left_partial_tileLj256ELj16ELb1EJPiS1_S1_jEEvDpT3_
    .private_segment_fixed_size: 0
    .sgpr_count:     18
    .sgpr_spill_count: 0
    .symbol:         _Z6kernelI26subtract_left_partial_tileLj256ELj16ELb1EJPiS1_S1_jEEvDpT3_.kd
    .uniform_work_group_size: 1
    .uses_dynamic_stack: false
    .vgpr_count:     51
    .vgpr_spill_count: 0
    .wavefront_size: 32
    .workgroup_processor_mode: 1
  - .args:
      - .address_space:  global
        .offset:         0
        .size:           8
        .value_kind:     global_buffer
      - .address_space:  global
        .offset:         8
        .size:           8
        .value_kind:     global_buffer
      - .address_space:  global
        .offset:         16
        .size:           8
        .value_kind:     global_buffer
      - .offset:         24
        .size:           4
        .value_kind:     by_value
    .group_segment_fixed_size: 2048
    .kernarg_segment_align: 8
    .kernarg_segment_size: 28
    .language:       OpenCL C
    .language_version:
      - 2
      - 0
    .max_flat_workgroup_size: 256
    .name:           _Z6kernelI26subtract_left_partial_tileLj256ELj32ELb1EJPiS1_S1_jEEvDpT3_
    .private_segment_fixed_size: 0
    .sgpr_count:     18
    .sgpr_spill_count: 0
    .symbol:         _Z6kernelI26subtract_left_partial_tileLj256ELj32ELb1EJPiS1_S1_jEEvDpT3_.kd
    .uniform_work_group_size: 1
    .uses_dynamic_stack: false
    .vgpr_count:     95
    .vgpr_spill_count: 0
    .wavefront_size: 32
    .workgroup_processor_mode: 1
  - .args:
      - .address_space:  global
        .offset:         0
        .size:           8
        .value_kind:     global_buffer
      - .address_space:  global
        .offset:         8
        .size:           8
        .value_kind:     global_buffer
      - .address_space:  global
        .offset:         16
        .size:           8
        .value_kind:     global_buffer
      - .offset:         24
        .size:           4
        .value_kind:     by_value
    .group_segment_fixed_size: 2048
    .kernarg_segment_align: 8
    .kernarg_segment_size: 28
    .language:       OpenCL C
    .language_version:
      - 2
      - 0
    .max_flat_workgroup_size: 256
    .name:           _Z6kernelI26subtract_left_partial_tileLj256ELj1ELb1EJPfPiS1_jEEvDpT3_
    .private_segment_fixed_size: 0
    .sgpr_count:     18
    .sgpr_spill_count: 0
    .symbol:         _Z6kernelI26subtract_left_partial_tileLj256ELj1ELb1EJPfPiS1_jEEvDpT3_.kd
    .uniform_work_group_size: 1
    .uses_dynamic_stack: false
    .vgpr_count:     5
    .vgpr_spill_count: 0
    .wavefront_size: 32
    .workgroup_processor_mode: 1
  - .args:
      - .address_space:  global
        .offset:         0
        .size:           8
        .value_kind:     global_buffer
      - .address_space:  global
        .offset:         8
        .size:           8
        .value_kind:     global_buffer
      - .address_space:  global
        .offset:         16
        .size:           8
        .value_kind:     global_buffer
      - .offset:         24
        .size:           4
        .value_kind:     by_value
    .group_segment_fixed_size: 2048
    .kernarg_segment_align: 8
    .kernarg_segment_size: 28
    .language:       OpenCL C
    .language_version:
      - 2
      - 0
    .max_flat_workgroup_size: 256
    .name:           _Z6kernelI26subtract_left_partial_tileLj256ELj3ELb1EJPfPiS1_jEEvDpT3_
    .private_segment_fixed_size: 0
    .sgpr_count:     18
    .sgpr_spill_count: 0
    .symbol:         _Z6kernelI26subtract_left_partial_tileLj256ELj3ELb1EJPfPiS1_jEEvDpT3_.kd
    .uniform_work_group_size: 1
    .uses_dynamic_stack: false
    .vgpr_count:     12
    .vgpr_spill_count: 0
    .wavefront_size: 32
    .workgroup_processor_mode: 1
  - .args:
      - .address_space:  global
        .offset:         0
        .size:           8
        .value_kind:     global_buffer
      - .address_space:  global
        .offset:         8
        .size:           8
        .value_kind:     global_buffer
      - .address_space:  global
        .offset:         16
        .size:           8
        .value_kind:     global_buffer
      - .offset:         24
        .size:           4
        .value_kind:     by_value
    .group_segment_fixed_size: 2048
    .kernarg_segment_align: 8
    .kernarg_segment_size: 28
    .language:       OpenCL C
    .language_version:
      - 2
      - 0
    .max_flat_workgroup_size: 256
    .name:           _Z6kernelI26subtract_left_partial_tileLj256ELj4ELb1EJPfPiS1_jEEvDpT3_
    .private_segment_fixed_size: 0
    .sgpr_count:     18
    .sgpr_spill_count: 0
    .symbol:         _Z6kernelI26subtract_left_partial_tileLj256ELj4ELb1EJPfPiS1_jEEvDpT3_.kd
    .uniform_work_group_size: 1
    .uses_dynamic_stack: false
    .vgpr_count:     14
    .vgpr_spill_count: 0
    .wavefront_size: 32
    .workgroup_processor_mode: 1
  - .args:
      - .address_space:  global
        .offset:         0
        .size:           8
        .value_kind:     global_buffer
      - .address_space:  global
        .offset:         8
        .size:           8
        .value_kind:     global_buffer
      - .address_space:  global
        .offset:         16
        .size:           8
        .value_kind:     global_buffer
      - .offset:         24
        .size:           4
        .value_kind:     by_value
    .group_segment_fixed_size: 2048
    .kernarg_segment_align: 8
    .kernarg_segment_size: 28
    .language:       OpenCL C
    .language_version:
      - 2
      - 0
    .max_flat_workgroup_size: 256
    .name:           _Z6kernelI26subtract_left_partial_tileLj256ELj8ELb1EJPfPiS1_jEEvDpT3_
    .private_segment_fixed_size: 0
    .sgpr_count:     18
    .sgpr_spill_count: 0
    .symbol:         _Z6kernelI26subtract_left_partial_tileLj256ELj8ELb1EJPfPiS1_jEEvDpT3_.kd
    .uniform_work_group_size: 1
    .uses_dynamic_stack: false
    .vgpr_count:     27
    .vgpr_spill_count: 0
    .wavefront_size: 32
    .workgroup_processor_mode: 1
  - .args:
      - .address_space:  global
        .offset:         0
        .size:           8
        .value_kind:     global_buffer
      - .address_space:  global
        .offset:         8
        .size:           8
        .value_kind:     global_buffer
      - .address_space:  global
        .offset:         16
        .size:           8
        .value_kind:     global_buffer
      - .offset:         24
        .size:           4
        .value_kind:     by_value
    .group_segment_fixed_size: 2048
    .kernarg_segment_align: 8
    .kernarg_segment_size: 28
    .language:       OpenCL C
    .language_version:
      - 2
      - 0
    .max_flat_workgroup_size: 256
    .name:           _Z6kernelI26subtract_left_partial_tileLj256ELj16ELb1EJPfPiS1_jEEvDpT3_
    .private_segment_fixed_size: 0
    .sgpr_count:     18
    .sgpr_spill_count: 0
    .symbol:         _Z6kernelI26subtract_left_partial_tileLj256ELj16ELb1EJPfPiS1_jEEvDpT3_.kd
    .uniform_work_group_size: 1
    .uses_dynamic_stack: false
    .vgpr_count:     51
    .vgpr_spill_count: 0
    .wavefront_size: 32
    .workgroup_processor_mode: 1
  - .args:
      - .address_space:  global
        .offset:         0
        .size:           8
        .value_kind:     global_buffer
      - .address_space:  global
        .offset:         8
        .size:           8
        .value_kind:     global_buffer
      - .address_space:  global
        .offset:         16
        .size:           8
        .value_kind:     global_buffer
      - .offset:         24
        .size:           4
        .value_kind:     by_value
    .group_segment_fixed_size: 2048
    .kernarg_segment_align: 8
    .kernarg_segment_size: 28
    .language:       OpenCL C
    .language_version:
      - 2
      - 0
    .max_flat_workgroup_size: 256
    .name:           _Z6kernelI26subtract_left_partial_tileLj256ELj32ELb1EJPfPiS1_jEEvDpT3_
    .private_segment_fixed_size: 0
    .sgpr_count:     18
    .sgpr_spill_count: 0
    .symbol:         _Z6kernelI26subtract_left_partial_tileLj256ELj32ELb1EJPfPiS1_jEEvDpT3_.kd
    .uniform_work_group_size: 1
    .uses_dynamic_stack: false
    .vgpr_count:     95
    .vgpr_spill_count: 0
    .wavefront_size: 32
    .workgroup_processor_mode: 1
  - .args:
      - .address_space:  global
        .offset:         0
        .size:           8
        .value_kind:     global_buffer
      - .address_space:  global
        .offset:         8
        .size:           8
        .value_kind:     global_buffer
      - .address_space:  global
        .offset:         16
        .size:           8
        .value_kind:     global_buffer
      - .offset:         24
        .size:           4
        .value_kind:     by_value
    .group_segment_fixed_size: 512
    .kernarg_segment_align: 8
    .kernarg_segment_size: 28
    .language:       OpenCL C
    .language_version:
      - 2
      - 0
    .max_flat_workgroup_size: 256
    .name:           _Z6kernelI26subtract_left_partial_tileLj256ELj1ELb1EJPaPiS1_jEEvDpT3_
    .private_segment_fixed_size: 0
    .sgpr_count:     18
    .sgpr_spill_count: 0
    .symbol:         _Z6kernelI26subtract_left_partial_tileLj256ELj1ELb1EJPaPiS1_jEEvDpT3_.kd
    .uniform_work_group_size: 1
    .uses_dynamic_stack: false
    .vgpr_count:     4
    .vgpr_spill_count: 0
    .wavefront_size: 32
    .workgroup_processor_mode: 1
  - .args:
      - .address_space:  global
        .offset:         0
        .size:           8
        .value_kind:     global_buffer
      - .address_space:  global
        .offset:         8
        .size:           8
        .value_kind:     global_buffer
      - .address_space:  global
        .offset:         16
        .size:           8
        .value_kind:     global_buffer
      - .offset:         24
        .size:           4
        .value_kind:     by_value
    .group_segment_fixed_size: 512
    .kernarg_segment_align: 8
    .kernarg_segment_size: 28
    .language:       OpenCL C
    .language_version:
      - 2
      - 0
    .max_flat_workgroup_size: 256
    .name:           _Z6kernelI26subtract_left_partial_tileLj256ELj3ELb1EJPaPiS1_jEEvDpT3_
    .private_segment_fixed_size: 0
    .sgpr_count:     18
    .sgpr_spill_count: 0
    .symbol:         _Z6kernelI26subtract_left_partial_tileLj256ELj3ELb1EJPaPiS1_jEEvDpT3_.kd
    .uniform_work_group_size: 1
    .uses_dynamic_stack: false
    .vgpr_count:     13
    .vgpr_spill_count: 0
    .wavefront_size: 32
    .workgroup_processor_mode: 1
  - .args:
      - .address_space:  global
        .offset:         0
        .size:           8
        .value_kind:     global_buffer
      - .address_space:  global
        .offset:         8
        .size:           8
        .value_kind:     global_buffer
      - .address_space:  global
        .offset:         16
        .size:           8
        .value_kind:     global_buffer
      - .offset:         24
        .size:           4
        .value_kind:     by_value
    .group_segment_fixed_size: 512
    .kernarg_segment_align: 8
    .kernarg_segment_size: 28
    .language:       OpenCL C
    .language_version:
      - 2
      - 0
    .max_flat_workgroup_size: 256
    .name:           _Z6kernelI26subtract_left_partial_tileLj256ELj4ELb1EJPaPiS1_jEEvDpT3_
    .private_segment_fixed_size: 0
    .sgpr_count:     18
    .sgpr_spill_count: 0
    .symbol:         _Z6kernelI26subtract_left_partial_tileLj256ELj4ELb1EJPaPiS1_jEEvDpT3_.kd
    .uniform_work_group_size: 1
    .uses_dynamic_stack: false
    .vgpr_count:     16
    .vgpr_spill_count: 0
    .wavefront_size: 32
    .workgroup_processor_mode: 1
  - .args:
      - .address_space:  global
        .offset:         0
        .size:           8
        .value_kind:     global_buffer
      - .address_space:  global
        .offset:         8
        .size:           8
        .value_kind:     global_buffer
      - .address_space:  global
        .offset:         16
        .size:           8
        .value_kind:     global_buffer
      - .offset:         24
        .size:           4
        .value_kind:     by_value
    .group_segment_fixed_size: 512
    .kernarg_segment_align: 8
    .kernarg_segment_size: 28
    .language:       OpenCL C
    .language_version:
      - 2
      - 0
    .max_flat_workgroup_size: 256
    .name:           _Z6kernelI26subtract_left_partial_tileLj256ELj8ELb1EJPaPiS1_jEEvDpT3_
    .private_segment_fixed_size: 0
    .sgpr_count:     18
    .sgpr_spill_count: 0
    .symbol:         _Z6kernelI26subtract_left_partial_tileLj256ELj8ELb1EJPaPiS1_jEEvDpT3_.kd
    .uniform_work_group_size: 1
    .uses_dynamic_stack: false
    .vgpr_count:     33
    .vgpr_spill_count: 0
    .wavefront_size: 32
    .workgroup_processor_mode: 1
  - .args:
      - .address_space:  global
        .offset:         0
        .size:           8
        .value_kind:     global_buffer
      - .address_space:  global
        .offset:         8
        .size:           8
        .value_kind:     global_buffer
      - .address_space:  global
        .offset:         16
        .size:           8
        .value_kind:     global_buffer
      - .offset:         24
        .size:           4
        .value_kind:     by_value
    .group_segment_fixed_size: 512
    .kernarg_segment_align: 8
    .kernarg_segment_size: 28
    .language:       OpenCL C
    .language_version:
      - 2
      - 0
    .max_flat_workgroup_size: 256
    .name:           _Z6kernelI26subtract_left_partial_tileLj256ELj16ELb1EJPaPiS1_jEEvDpT3_
    .private_segment_fixed_size: 0
    .sgpr_count:     18
    .sgpr_spill_count: 0
    .symbol:         _Z6kernelI26subtract_left_partial_tileLj256ELj16ELb1EJPaPiS1_jEEvDpT3_.kd
    .uniform_work_group_size: 1
    .uses_dynamic_stack: false
    .vgpr_count:     57
    .vgpr_spill_count: 0
    .wavefront_size: 32
    .workgroup_processor_mode: 1
  - .args:
      - .address_space:  global
        .offset:         0
        .size:           8
        .value_kind:     global_buffer
      - .address_space:  global
        .offset:         8
        .size:           8
        .value_kind:     global_buffer
      - .address_space:  global
        .offset:         16
        .size:           8
        .value_kind:     global_buffer
      - .offset:         24
        .size:           4
        .value_kind:     by_value
    .group_segment_fixed_size: 512
    .kernarg_segment_align: 8
    .kernarg_segment_size: 28
    .language:       OpenCL C
    .language_version:
      - 2
      - 0
    .max_flat_workgroup_size: 256
    .name:           _Z6kernelI26subtract_left_partial_tileLj256ELj32ELb1EJPaPiS1_jEEvDpT3_
    .private_segment_fixed_size: 0
    .sgpr_count:     18
    .sgpr_spill_count: 0
    .symbol:         _Z6kernelI26subtract_left_partial_tileLj256ELj32ELb1EJPaPiS1_jEEvDpT3_.kd
    .uniform_work_group_size: 1
    .uses_dynamic_stack: false
    .vgpr_count:     94
    .vgpr_spill_count: 0
    .wavefront_size: 32
    .workgroup_processor_mode: 1
  - .args:
      - .address_space:  global
        .offset:         0
        .size:           8
        .value_kind:     global_buffer
      - .address_space:  global
        .offset:         8
        .size:           8
        .value_kind:     global_buffer
      - .address_space:  global
        .offset:         16
        .size:           8
        .value_kind:     global_buffer
      - .offset:         24
        .size:           4
        .value_kind:     by_value
    .group_segment_fixed_size: 4096
    .kernarg_segment_align: 8
    .kernarg_segment_size: 28
    .language:       OpenCL C
    .language_version:
      - 2
      - 0
    .max_flat_workgroup_size: 256
    .name:           _Z6kernelI26subtract_left_partial_tileLj256ELj1ELb1EJPxPiS1_jEEvDpT3_
    .private_segment_fixed_size: 0
    .sgpr_count:     18
    .sgpr_spill_count: 0
    .symbol:         _Z6kernelI26subtract_left_partial_tileLj256ELj1ELb1EJPxPiS1_jEEvDpT3_.kd
    .uniform_work_group_size: 1
    .uses_dynamic_stack: false
    .vgpr_count:     7
    .vgpr_spill_count: 0
    .wavefront_size: 32
    .workgroup_processor_mode: 1
  - .args:
      - .address_space:  global
        .offset:         0
        .size:           8
        .value_kind:     global_buffer
      - .address_space:  global
        .offset:         8
        .size:           8
        .value_kind:     global_buffer
      - .address_space:  global
        .offset:         16
        .size:           8
        .value_kind:     global_buffer
      - .offset:         24
        .size:           4
        .value_kind:     by_value
    .group_segment_fixed_size: 4096
    .kernarg_segment_align: 8
    .kernarg_segment_size: 28
    .language:       OpenCL C
    .language_version:
      - 2
      - 0
    .max_flat_workgroup_size: 256
    .name:           _Z6kernelI26subtract_left_partial_tileLj256ELj3ELb1EJPxPiS1_jEEvDpT3_
    .private_segment_fixed_size: 0
    .sgpr_count:     18
    .sgpr_spill_count: 0
    .symbol:         _Z6kernelI26subtract_left_partial_tileLj256ELj3ELb1EJPxPiS1_jEEvDpT3_.kd
    .uniform_work_group_size: 1
    .uses_dynamic_stack: false
    .vgpr_count:     18
    .vgpr_spill_count: 0
    .wavefront_size: 32
    .workgroup_processor_mode: 1
  - .args:
      - .address_space:  global
        .offset:         0
        .size:           8
        .value_kind:     global_buffer
      - .address_space:  global
        .offset:         8
        .size:           8
        .value_kind:     global_buffer
      - .address_space:  global
        .offset:         16
        .size:           8
        .value_kind:     global_buffer
      - .offset:         24
        .size:           4
        .value_kind:     by_value
    .group_segment_fixed_size: 4096
    .kernarg_segment_align: 8
    .kernarg_segment_size: 28
    .language:       OpenCL C
    .language_version:
      - 2
      - 0
    .max_flat_workgroup_size: 256
    .name:           _Z6kernelI26subtract_left_partial_tileLj256ELj4ELb1EJPxPiS1_jEEvDpT3_
    .private_segment_fixed_size: 0
    .sgpr_count:     18
    .sgpr_spill_count: 0
    .symbol:         _Z6kernelI26subtract_left_partial_tileLj256ELj4ELb1EJPxPiS1_jEEvDpT3_.kd
    .uniform_work_group_size: 1
    .uses_dynamic_stack: false
    .vgpr_count:     23
    .vgpr_spill_count: 0
    .wavefront_size: 32
    .workgroup_processor_mode: 1
  - .args:
      - .address_space:  global
        .offset:         0
        .size:           8
        .value_kind:     global_buffer
      - .address_space:  global
        .offset:         8
        .size:           8
        .value_kind:     global_buffer
      - .address_space:  global
        .offset:         16
        .size:           8
        .value_kind:     global_buffer
      - .offset:         24
        .size:           4
        .value_kind:     by_value
    .group_segment_fixed_size: 4096
    .kernarg_segment_align: 8
    .kernarg_segment_size: 28
    .language:       OpenCL C
    .language_version:
      - 2
      - 0
    .max_flat_workgroup_size: 256
    .name:           _Z6kernelI26subtract_left_partial_tileLj256ELj8ELb1EJPxPiS1_jEEvDpT3_
    .private_segment_fixed_size: 0
    .sgpr_count:     18
    .sgpr_spill_count: 0
    .symbol:         _Z6kernelI26subtract_left_partial_tileLj256ELj8ELb1EJPxPiS1_jEEvDpT3_.kd
    .uniform_work_group_size: 1
    .uses_dynamic_stack: false
    .vgpr_count:     42
    .vgpr_spill_count: 0
    .wavefront_size: 32
    .workgroup_processor_mode: 1
  - .args:
      - .address_space:  global
        .offset:         0
        .size:           8
        .value_kind:     global_buffer
      - .address_space:  global
        .offset:         8
        .size:           8
        .value_kind:     global_buffer
      - .address_space:  global
        .offset:         16
        .size:           8
        .value_kind:     global_buffer
      - .offset:         24
        .size:           4
        .value_kind:     by_value
    .group_segment_fixed_size: 4096
    .kernarg_segment_align: 8
    .kernarg_segment_size: 28
    .language:       OpenCL C
    .language_version:
      - 2
      - 0
    .max_flat_workgroup_size: 256
    .name:           _Z6kernelI26subtract_left_partial_tileLj256ELj16ELb1EJPxPiS1_jEEvDpT3_
    .private_segment_fixed_size: 0
    .sgpr_count:     18
    .sgpr_spill_count: 0
    .symbol:         _Z6kernelI26subtract_left_partial_tileLj256ELj16ELb1EJPxPiS1_jEEvDpT3_.kd
    .uniform_work_group_size: 1
    .uses_dynamic_stack: false
    .vgpr_count:     83
    .vgpr_spill_count: 0
    .wavefront_size: 32
    .workgroup_processor_mode: 1
  - .args:
      - .address_space:  global
        .offset:         0
        .size:           8
        .value_kind:     global_buffer
      - .address_space:  global
        .offset:         8
        .size:           8
        .value_kind:     global_buffer
      - .address_space:  global
        .offset:         16
        .size:           8
        .value_kind:     global_buffer
      - .offset:         24
        .size:           4
        .value_kind:     by_value
    .group_segment_fixed_size: 4096
    .kernarg_segment_align: 8
    .kernarg_segment_size: 28
    .language:       OpenCL C
    .language_version:
      - 2
      - 0
    .max_flat_workgroup_size: 256
    .name:           _Z6kernelI26subtract_left_partial_tileLj256ELj32ELb1EJPxPiS1_jEEvDpT3_
    .private_segment_fixed_size: 0
    .sgpr_count:     18
    .sgpr_spill_count: 0
    .symbol:         _Z6kernelI26subtract_left_partial_tileLj256ELj32ELb1EJPxPiS1_jEEvDpT3_.kd
    .uniform_work_group_size: 1
    .uses_dynamic_stack: false
    .vgpr_count:     119
    .vgpr_spill_count: 0
    .wavefront_size: 32
    .workgroup_processor_mode: 1
  - .args:
      - .address_space:  global
        .offset:         0
        .size:           8
        .value_kind:     global_buffer
      - .address_space:  global
        .offset:         8
        .size:           8
        .value_kind:     global_buffer
      - .address_space:  global
        .offset:         16
        .size:           8
        .value_kind:     global_buffer
      - .offset:         24
        .size:           4
        .value_kind:     by_value
    .group_segment_fixed_size: 4096
    .kernarg_segment_align: 8
    .kernarg_segment_size: 28
    .language:       OpenCL C
    .language_version:
      - 2
      - 0
    .max_flat_workgroup_size: 256
    .name:           _Z6kernelI26subtract_left_partial_tileLj256ELj1ELb1EJPdPiS1_jEEvDpT3_
    .private_segment_fixed_size: 0
    .sgpr_count:     18
    .sgpr_spill_count: 0
    .symbol:         _Z6kernelI26subtract_left_partial_tileLj256ELj1ELb1EJPdPiS1_jEEvDpT3_.kd
    .uniform_work_group_size: 1
    .uses_dynamic_stack: false
    .vgpr_count:     7
    .vgpr_spill_count: 0
    .wavefront_size: 32
    .workgroup_processor_mode: 1
  - .args:
      - .address_space:  global
        .offset:         0
        .size:           8
        .value_kind:     global_buffer
      - .address_space:  global
        .offset:         8
        .size:           8
        .value_kind:     global_buffer
      - .address_space:  global
        .offset:         16
        .size:           8
        .value_kind:     global_buffer
      - .offset:         24
        .size:           4
        .value_kind:     by_value
    .group_segment_fixed_size: 4096
    .kernarg_segment_align: 8
    .kernarg_segment_size: 28
    .language:       OpenCL C
    .language_version:
      - 2
      - 0
    .max_flat_workgroup_size: 256
    .name:           _Z6kernelI26subtract_left_partial_tileLj256ELj3ELb1EJPdPiS1_jEEvDpT3_
    .private_segment_fixed_size: 0
    .sgpr_count:     18
    .sgpr_spill_count: 0
    .symbol:         _Z6kernelI26subtract_left_partial_tileLj256ELj3ELb1EJPdPiS1_jEEvDpT3_.kd
    .uniform_work_group_size: 1
    .uses_dynamic_stack: false
    .vgpr_count:     18
    .vgpr_spill_count: 0
    .wavefront_size: 32
    .workgroup_processor_mode: 1
  - .args:
      - .address_space:  global
        .offset:         0
        .size:           8
        .value_kind:     global_buffer
      - .address_space:  global
        .offset:         8
        .size:           8
        .value_kind:     global_buffer
      - .address_space:  global
        .offset:         16
        .size:           8
        .value_kind:     global_buffer
      - .offset:         24
        .size:           4
        .value_kind:     by_value
    .group_segment_fixed_size: 4096
    .kernarg_segment_align: 8
    .kernarg_segment_size: 28
    .language:       OpenCL C
    .language_version:
      - 2
      - 0
    .max_flat_workgroup_size: 256
    .name:           _Z6kernelI26subtract_left_partial_tileLj256ELj4ELb1EJPdPiS1_jEEvDpT3_
    .private_segment_fixed_size: 0
    .sgpr_count:     18
    .sgpr_spill_count: 0
    .symbol:         _Z6kernelI26subtract_left_partial_tileLj256ELj4ELb1EJPdPiS1_jEEvDpT3_.kd
    .uniform_work_group_size: 1
    .uses_dynamic_stack: false
    .vgpr_count:     23
    .vgpr_spill_count: 0
    .wavefront_size: 32
    .workgroup_processor_mode: 1
  - .args:
      - .address_space:  global
        .offset:         0
        .size:           8
        .value_kind:     global_buffer
      - .address_space:  global
        .offset:         8
        .size:           8
        .value_kind:     global_buffer
      - .address_space:  global
        .offset:         16
        .size:           8
        .value_kind:     global_buffer
      - .offset:         24
        .size:           4
        .value_kind:     by_value
    .group_segment_fixed_size: 4096
    .kernarg_segment_align: 8
    .kernarg_segment_size: 28
    .language:       OpenCL C
    .language_version:
      - 2
      - 0
    .max_flat_workgroup_size: 256
    .name:           _Z6kernelI26subtract_left_partial_tileLj256ELj8ELb1EJPdPiS1_jEEvDpT3_
    .private_segment_fixed_size: 0
    .sgpr_count:     18
    .sgpr_spill_count: 0
    .symbol:         _Z6kernelI26subtract_left_partial_tileLj256ELj8ELb1EJPdPiS1_jEEvDpT3_.kd
    .uniform_work_group_size: 1
    .uses_dynamic_stack: false
    .vgpr_count:     42
    .vgpr_spill_count: 0
    .wavefront_size: 32
    .workgroup_processor_mode: 1
  - .args:
      - .address_space:  global
        .offset:         0
        .size:           8
        .value_kind:     global_buffer
      - .address_space:  global
        .offset:         8
        .size:           8
        .value_kind:     global_buffer
      - .address_space:  global
        .offset:         16
        .size:           8
        .value_kind:     global_buffer
      - .offset:         24
        .size:           4
        .value_kind:     by_value
    .group_segment_fixed_size: 4096
    .kernarg_segment_align: 8
    .kernarg_segment_size: 28
    .language:       OpenCL C
    .language_version:
      - 2
      - 0
    .max_flat_workgroup_size: 256
    .name:           _Z6kernelI26subtract_left_partial_tileLj256ELj16ELb1EJPdPiS1_jEEvDpT3_
    .private_segment_fixed_size: 0
    .sgpr_count:     18
    .sgpr_spill_count: 0
    .symbol:         _Z6kernelI26subtract_left_partial_tileLj256ELj16ELb1EJPdPiS1_jEEvDpT3_.kd
    .uniform_work_group_size: 1
    .uses_dynamic_stack: false
    .vgpr_count:     83
    .vgpr_spill_count: 0
    .wavefront_size: 32
    .workgroup_processor_mode: 1
  - .args:
      - .address_space:  global
        .offset:         0
        .size:           8
        .value_kind:     global_buffer
      - .address_space:  global
        .offset:         8
        .size:           8
        .value_kind:     global_buffer
      - .address_space:  global
        .offset:         16
        .size:           8
        .value_kind:     global_buffer
      - .offset:         24
        .size:           4
        .value_kind:     by_value
    .group_segment_fixed_size: 4096
    .kernarg_segment_align: 8
    .kernarg_segment_size: 28
    .language:       OpenCL C
    .language_version:
      - 2
      - 0
    .max_flat_workgroup_size: 256
    .name:           _Z6kernelI26subtract_left_partial_tileLj256ELj32ELb1EJPdPiS1_jEEvDpT3_
    .private_segment_fixed_size: 0
    .sgpr_count:     18
    .sgpr_spill_count: 0
    .symbol:         _Z6kernelI26subtract_left_partial_tileLj256ELj32ELb1EJPdPiS1_jEEvDpT3_.kd
    .uniform_work_group_size: 1
    .uses_dynamic_stack: false
    .vgpr_count:     163
    .vgpr_spill_count: 0
    .wavefront_size: 32
    .workgroup_processor_mode: 1
  - .args:
      - .address_space:  global
        .offset:         0
        .size:           8
        .value_kind:     global_buffer
      - .address_space:  global
        .offset:         8
        .size:           8
        .value_kind:     global_buffer
      - .address_space:  global
        .offset:         16
        .size:           8
        .value_kind:     global_buffer
      - .offset:         24
        .size:           4
        .value_kind:     by_value
    .group_segment_fixed_size: 2048
    .kernarg_segment_align: 8
    .kernarg_segment_size: 28
    .language:       OpenCL C
    .language_version:
      - 2
      - 0
    .max_flat_workgroup_size: 256
    .name:           _Z6kernelI27subtract_right_partial_tileLj256ELj1ELb0EJPiS1_S1_jEEvDpT3_
    .private_segment_fixed_size: 0
    .sgpr_count:     16
    .sgpr_spill_count: 0
    .symbol:         _Z6kernelI27subtract_right_partial_tileLj256ELj1ELb0EJPiS1_S1_jEEvDpT3_.kd
    .uniform_work_group_size: 1
    .uses_dynamic_stack: false
    .vgpr_count:     6
    .vgpr_spill_count: 0
    .wavefront_size: 32
    .workgroup_processor_mode: 1
  - .args:
      - .address_space:  global
        .offset:         0
        .size:           8
        .value_kind:     global_buffer
      - .address_space:  global
        .offset:         8
        .size:           8
        .value_kind:     global_buffer
      - .address_space:  global
        .offset:         16
        .size:           8
        .value_kind:     global_buffer
      - .offset:         24
        .size:           4
        .value_kind:     by_value
    .group_segment_fixed_size: 2048
    .kernarg_segment_align: 8
    .kernarg_segment_size: 28
    .language:       OpenCL C
    .language_version:
      - 2
      - 0
    .max_flat_workgroup_size: 256
    .name:           _Z6kernelI27subtract_right_partial_tileLj256ELj3ELb0EJPiS1_S1_jEEvDpT3_
    .private_segment_fixed_size: 0
    .sgpr_count:     18
    .sgpr_spill_count: 0
    .symbol:         _Z6kernelI27subtract_right_partial_tileLj256ELj3ELb0EJPiS1_S1_jEEvDpT3_.kd
    .uniform_work_group_size: 1
    .uses_dynamic_stack: false
    .vgpr_count:     12
    .vgpr_spill_count: 0
    .wavefront_size: 32
    .workgroup_processor_mode: 1
  - .args:
      - .address_space:  global
        .offset:         0
        .size:           8
        .value_kind:     global_buffer
      - .address_space:  global
        .offset:         8
        .size:           8
        .value_kind:     global_buffer
      - .address_space:  global
        .offset:         16
        .size:           8
        .value_kind:     global_buffer
      - .offset:         24
        .size:           4
        .value_kind:     by_value
    .group_segment_fixed_size: 2048
    .kernarg_segment_align: 8
    .kernarg_segment_size: 28
    .language:       OpenCL C
    .language_version:
      - 2
      - 0
    .max_flat_workgroup_size: 256
    .name:           _Z6kernelI27subtract_right_partial_tileLj256ELj4ELb0EJPiS1_S1_jEEvDpT3_
    .private_segment_fixed_size: 0
    .sgpr_count:     18
    .sgpr_spill_count: 0
    .symbol:         _Z6kernelI27subtract_right_partial_tileLj256ELj4ELb0EJPiS1_S1_jEEvDpT3_.kd
    .uniform_work_group_size: 1
    .uses_dynamic_stack: false
    .vgpr_count:     15
    .vgpr_spill_count: 0
    .wavefront_size: 32
    .workgroup_processor_mode: 1
  - .args:
      - .address_space:  global
        .offset:         0
        .size:           8
        .value_kind:     global_buffer
      - .address_space:  global
        .offset:         8
        .size:           8
        .value_kind:     global_buffer
      - .address_space:  global
        .offset:         16
        .size:           8
        .value_kind:     global_buffer
      - .offset:         24
        .size:           4
        .value_kind:     by_value
    .group_segment_fixed_size: 2048
    .kernarg_segment_align: 8
    .kernarg_segment_size: 28
    .language:       OpenCL C
    .language_version:
      - 2
      - 0
    .max_flat_workgroup_size: 256
    .name:           _Z6kernelI27subtract_right_partial_tileLj256ELj8ELb0EJPiS1_S1_jEEvDpT3_
    .private_segment_fixed_size: 0
    .sgpr_count:     18
    .sgpr_spill_count: 0
    .symbol:         _Z6kernelI27subtract_right_partial_tileLj256ELj8ELb0EJPiS1_S1_jEEvDpT3_.kd
    .uniform_work_group_size: 1
    .uses_dynamic_stack: false
    .vgpr_count:     27
    .vgpr_spill_count: 0
    .wavefront_size: 32
    .workgroup_processor_mode: 1
  - .args:
      - .address_space:  global
        .offset:         0
        .size:           8
        .value_kind:     global_buffer
      - .address_space:  global
        .offset:         8
        .size:           8
        .value_kind:     global_buffer
      - .address_space:  global
        .offset:         16
        .size:           8
        .value_kind:     global_buffer
      - .offset:         24
        .size:           4
        .value_kind:     by_value
    .group_segment_fixed_size: 2048
    .kernarg_segment_align: 8
    .kernarg_segment_size: 28
    .language:       OpenCL C
    .language_version:
      - 2
      - 0
    .max_flat_workgroup_size: 256
    .name:           _Z6kernelI27subtract_right_partial_tileLj256ELj16ELb0EJPiS1_S1_jEEvDpT3_
    .private_segment_fixed_size: 0
    .sgpr_count:     18
    .sgpr_spill_count: 0
    .symbol:         _Z6kernelI27subtract_right_partial_tileLj256ELj16ELb0EJPiS1_S1_jEEvDpT3_.kd
    .uniform_work_group_size: 1
    .uses_dynamic_stack: false
    .vgpr_count:     51
    .vgpr_spill_count: 0
    .wavefront_size: 32
    .workgroup_processor_mode: 1
  - .args:
      - .address_space:  global
        .offset:         0
        .size:           8
        .value_kind:     global_buffer
      - .address_space:  global
        .offset:         8
        .size:           8
        .value_kind:     global_buffer
      - .address_space:  global
        .offset:         16
        .size:           8
        .value_kind:     global_buffer
      - .offset:         24
        .size:           4
        .value_kind:     by_value
    .group_segment_fixed_size: 2048
    .kernarg_segment_align: 8
    .kernarg_segment_size: 28
    .language:       OpenCL C
    .language_version:
      - 2
      - 0
    .max_flat_workgroup_size: 256
    .name:           _Z6kernelI27subtract_right_partial_tileLj256ELj32ELb0EJPiS1_S1_jEEvDpT3_
    .private_segment_fixed_size: 0
    .sgpr_count:     18
    .sgpr_spill_count: 0
    .symbol:         _Z6kernelI27subtract_right_partial_tileLj256ELj32ELb0EJPiS1_S1_jEEvDpT3_.kd
    .uniform_work_group_size: 1
    .uses_dynamic_stack: false
    .vgpr_count:     89
    .vgpr_spill_count: 0
    .wavefront_size: 32
    .workgroup_processor_mode: 1
  - .args:
      - .address_space:  global
        .offset:         0
        .size:           8
        .value_kind:     global_buffer
      - .address_space:  global
        .offset:         8
        .size:           8
        .value_kind:     global_buffer
      - .address_space:  global
        .offset:         16
        .size:           8
        .value_kind:     global_buffer
      - .offset:         24
        .size:           4
        .value_kind:     by_value
    .group_segment_fixed_size: 2048
    .kernarg_segment_align: 8
    .kernarg_segment_size: 28
    .language:       OpenCL C
    .language_version:
      - 2
      - 0
    .max_flat_workgroup_size: 256
    .name:           _Z6kernelI27subtract_right_partial_tileLj256ELj1ELb0EJPfPiS1_jEEvDpT3_
    .private_segment_fixed_size: 0
    .sgpr_count:     16
    .sgpr_spill_count: 0
    .symbol:         _Z6kernelI27subtract_right_partial_tileLj256ELj1ELb0EJPfPiS1_jEEvDpT3_.kd
    .uniform_work_group_size: 1
    .uses_dynamic_stack: false
    .vgpr_count:     6
    .vgpr_spill_count: 0
    .wavefront_size: 32
    .workgroup_processor_mode: 1
  - .args:
      - .address_space:  global
        .offset:         0
        .size:           8
        .value_kind:     global_buffer
      - .address_space:  global
        .offset:         8
        .size:           8
        .value_kind:     global_buffer
      - .address_space:  global
        .offset:         16
        .size:           8
        .value_kind:     global_buffer
      - .offset:         24
        .size:           4
        .value_kind:     by_value
    .group_segment_fixed_size: 2048
    .kernarg_segment_align: 8
    .kernarg_segment_size: 28
    .language:       OpenCL C
    .language_version:
      - 2
      - 0
    .max_flat_workgroup_size: 256
    .name:           _Z6kernelI27subtract_right_partial_tileLj256ELj3ELb0EJPfPiS1_jEEvDpT3_
    .private_segment_fixed_size: 0
    .sgpr_count:     18
    .sgpr_spill_count: 0
    .symbol:         _Z6kernelI27subtract_right_partial_tileLj256ELj3ELb0EJPfPiS1_jEEvDpT3_.kd
    .uniform_work_group_size: 1
    .uses_dynamic_stack: false
    .vgpr_count:     12
    .vgpr_spill_count: 0
    .wavefront_size: 32
    .workgroup_processor_mode: 1
  - .args:
      - .address_space:  global
        .offset:         0
        .size:           8
        .value_kind:     global_buffer
      - .address_space:  global
        .offset:         8
        .size:           8
        .value_kind:     global_buffer
      - .address_space:  global
        .offset:         16
        .size:           8
        .value_kind:     global_buffer
      - .offset:         24
        .size:           4
        .value_kind:     by_value
    .group_segment_fixed_size: 2048
    .kernarg_segment_align: 8
    .kernarg_segment_size: 28
    .language:       OpenCL C
    .language_version:
      - 2
      - 0
    .max_flat_workgroup_size: 256
    .name:           _Z6kernelI27subtract_right_partial_tileLj256ELj4ELb0EJPfPiS1_jEEvDpT3_
    .private_segment_fixed_size: 0
    .sgpr_count:     18
    .sgpr_spill_count: 0
    .symbol:         _Z6kernelI27subtract_right_partial_tileLj256ELj4ELb0EJPfPiS1_jEEvDpT3_.kd
    .uniform_work_group_size: 1
    .uses_dynamic_stack: false
    .vgpr_count:     15
    .vgpr_spill_count: 0
    .wavefront_size: 32
    .workgroup_processor_mode: 1
  - .args:
      - .address_space:  global
        .offset:         0
        .size:           8
        .value_kind:     global_buffer
      - .address_space:  global
        .offset:         8
        .size:           8
        .value_kind:     global_buffer
      - .address_space:  global
        .offset:         16
        .size:           8
        .value_kind:     global_buffer
      - .offset:         24
        .size:           4
        .value_kind:     by_value
    .group_segment_fixed_size: 2048
    .kernarg_segment_align: 8
    .kernarg_segment_size: 28
    .language:       OpenCL C
    .language_version:
      - 2
      - 0
    .max_flat_workgroup_size: 256
    .name:           _Z6kernelI27subtract_right_partial_tileLj256ELj8ELb0EJPfPiS1_jEEvDpT3_
    .private_segment_fixed_size: 0
    .sgpr_count:     18
    .sgpr_spill_count: 0
    .symbol:         _Z6kernelI27subtract_right_partial_tileLj256ELj8ELb0EJPfPiS1_jEEvDpT3_.kd
    .uniform_work_group_size: 1
    .uses_dynamic_stack: false
    .vgpr_count:     27
    .vgpr_spill_count: 0
    .wavefront_size: 32
    .workgroup_processor_mode: 1
  - .args:
      - .address_space:  global
        .offset:         0
        .size:           8
        .value_kind:     global_buffer
      - .address_space:  global
        .offset:         8
        .size:           8
        .value_kind:     global_buffer
      - .address_space:  global
        .offset:         16
        .size:           8
        .value_kind:     global_buffer
      - .offset:         24
        .size:           4
        .value_kind:     by_value
    .group_segment_fixed_size: 2048
    .kernarg_segment_align: 8
    .kernarg_segment_size: 28
    .language:       OpenCL C
    .language_version:
      - 2
      - 0
    .max_flat_workgroup_size: 256
    .name:           _Z6kernelI27subtract_right_partial_tileLj256ELj16ELb0EJPfPiS1_jEEvDpT3_
    .private_segment_fixed_size: 0
    .sgpr_count:     18
    .sgpr_spill_count: 0
    .symbol:         _Z6kernelI27subtract_right_partial_tileLj256ELj16ELb0EJPfPiS1_jEEvDpT3_.kd
    .uniform_work_group_size: 1
    .uses_dynamic_stack: false
    .vgpr_count:     51
    .vgpr_spill_count: 0
    .wavefront_size: 32
    .workgroup_processor_mode: 1
  - .args:
      - .address_space:  global
        .offset:         0
        .size:           8
        .value_kind:     global_buffer
      - .address_space:  global
        .offset:         8
        .size:           8
        .value_kind:     global_buffer
      - .address_space:  global
        .offset:         16
        .size:           8
        .value_kind:     global_buffer
      - .offset:         24
        .size:           4
        .value_kind:     by_value
    .group_segment_fixed_size: 2048
    .kernarg_segment_align: 8
    .kernarg_segment_size: 28
    .language:       OpenCL C
    .language_version:
      - 2
      - 0
    .max_flat_workgroup_size: 256
    .name:           _Z6kernelI27subtract_right_partial_tileLj256ELj32ELb0EJPfPiS1_jEEvDpT3_
    .private_segment_fixed_size: 0
    .sgpr_count:     18
    .sgpr_spill_count: 0
    .symbol:         _Z6kernelI27subtract_right_partial_tileLj256ELj32ELb0EJPfPiS1_jEEvDpT3_.kd
    .uniform_work_group_size: 1
    .uses_dynamic_stack: false
    .vgpr_count:     89
    .vgpr_spill_count: 0
    .wavefront_size: 32
    .workgroup_processor_mode: 1
  - .args:
      - .address_space:  global
        .offset:         0
        .size:           8
        .value_kind:     global_buffer
      - .address_space:  global
        .offset:         8
        .size:           8
        .value_kind:     global_buffer
      - .address_space:  global
        .offset:         16
        .size:           8
        .value_kind:     global_buffer
      - .offset:         24
        .size:           4
        .value_kind:     by_value
    .group_segment_fixed_size: 512
    .kernarg_segment_align: 8
    .kernarg_segment_size: 28
    .language:       OpenCL C
    .language_version:
      - 2
      - 0
    .max_flat_workgroup_size: 256
    .name:           _Z6kernelI27subtract_right_partial_tileLj256ELj1ELb0EJPaPiS1_jEEvDpT3_
    .private_segment_fixed_size: 0
    .sgpr_count:     16
    .sgpr_spill_count: 0
    .symbol:         _Z6kernelI27subtract_right_partial_tileLj256ELj1ELb0EJPaPiS1_jEEvDpT3_.kd
    .uniform_work_group_size: 1
    .uses_dynamic_stack: false
    .vgpr_count:     4
    .vgpr_spill_count: 0
    .wavefront_size: 32
    .workgroup_processor_mode: 1
  - .args:
      - .address_space:  global
        .offset:         0
        .size:           8
        .value_kind:     global_buffer
      - .address_space:  global
        .offset:         8
        .size:           8
        .value_kind:     global_buffer
      - .address_space:  global
        .offset:         16
        .size:           8
        .value_kind:     global_buffer
      - .offset:         24
        .size:           4
        .value_kind:     by_value
    .group_segment_fixed_size: 512
    .kernarg_segment_align: 8
    .kernarg_segment_size: 28
    .language:       OpenCL C
    .language_version:
      - 2
      - 0
    .max_flat_workgroup_size: 256
    .name:           _Z6kernelI27subtract_right_partial_tileLj256ELj3ELb0EJPaPiS1_jEEvDpT3_
    .private_segment_fixed_size: 0
    .sgpr_count:     18
    .sgpr_spill_count: 0
    .symbol:         _Z6kernelI27subtract_right_partial_tileLj256ELj3ELb0EJPaPiS1_jEEvDpT3_.kd
    .uniform_work_group_size: 1
    .uses_dynamic_stack: false
    .vgpr_count:     11
    .vgpr_spill_count: 0
    .wavefront_size: 32
    .workgroup_processor_mode: 1
  - .args:
      - .address_space:  global
        .offset:         0
        .size:           8
        .value_kind:     global_buffer
      - .address_space:  global
        .offset:         8
        .size:           8
        .value_kind:     global_buffer
      - .address_space:  global
        .offset:         16
        .size:           8
        .value_kind:     global_buffer
      - .offset:         24
        .size:           4
        .value_kind:     by_value
    .group_segment_fixed_size: 512
    .kernarg_segment_align: 8
    .kernarg_segment_size: 28
    .language:       OpenCL C
    .language_version:
      - 2
      - 0
    .max_flat_workgroup_size: 256
    .name:           _Z6kernelI27subtract_right_partial_tileLj256ELj4ELb0EJPaPiS1_jEEvDpT3_
    .private_segment_fixed_size: 0
    .sgpr_count:     18
    .sgpr_spill_count: 0
    .symbol:         _Z6kernelI27subtract_right_partial_tileLj256ELj4ELb0EJPaPiS1_jEEvDpT3_.kd
    .uniform_work_group_size: 1
    .uses_dynamic_stack: false
    .vgpr_count:     15
    .vgpr_spill_count: 0
    .wavefront_size: 32
    .workgroup_processor_mode: 1
  - .args:
      - .address_space:  global
        .offset:         0
        .size:           8
        .value_kind:     global_buffer
      - .address_space:  global
        .offset:         8
        .size:           8
        .value_kind:     global_buffer
      - .address_space:  global
        .offset:         16
        .size:           8
        .value_kind:     global_buffer
      - .offset:         24
        .size:           4
        .value_kind:     by_value
    .group_segment_fixed_size: 512
    .kernarg_segment_align: 8
    .kernarg_segment_size: 28
    .language:       OpenCL C
    .language_version:
      - 2
      - 0
    .max_flat_workgroup_size: 256
    .name:           _Z6kernelI27subtract_right_partial_tileLj256ELj8ELb0EJPaPiS1_jEEvDpT3_
    .private_segment_fixed_size: 0
    .sgpr_count:     18
    .sgpr_spill_count: 0
    .symbol:         _Z6kernelI27subtract_right_partial_tileLj256ELj8ELb0EJPaPiS1_jEEvDpT3_.kd
    .uniform_work_group_size: 1
    .uses_dynamic_stack: false
    .vgpr_count:     28
    .vgpr_spill_count: 0
    .wavefront_size: 32
    .workgroup_processor_mode: 1
  - .args:
      - .address_space:  global
        .offset:         0
        .size:           8
        .value_kind:     global_buffer
      - .address_space:  global
        .offset:         8
        .size:           8
        .value_kind:     global_buffer
      - .address_space:  global
        .offset:         16
        .size:           8
        .value_kind:     global_buffer
      - .offset:         24
        .size:           4
        .value_kind:     by_value
    .group_segment_fixed_size: 512
    .kernarg_segment_align: 8
    .kernarg_segment_size: 28
    .language:       OpenCL C
    .language_version:
      - 2
      - 0
    .max_flat_workgroup_size: 256
    .name:           _Z6kernelI27subtract_right_partial_tileLj256ELj16ELb0EJPaPiS1_jEEvDpT3_
    .private_segment_fixed_size: 0
    .sgpr_count:     18
    .sgpr_spill_count: 0
    .symbol:         _Z6kernelI27subtract_right_partial_tileLj256ELj16ELb0EJPaPiS1_jEEvDpT3_.kd
    .uniform_work_group_size: 1
    .uses_dynamic_stack: false
    .vgpr_count:     52
    .vgpr_spill_count: 0
    .wavefront_size: 32
    .workgroup_processor_mode: 1
  - .args:
      - .address_space:  global
        .offset:         0
        .size:           8
        .value_kind:     global_buffer
      - .address_space:  global
        .offset:         8
        .size:           8
        .value_kind:     global_buffer
      - .address_space:  global
        .offset:         16
        .size:           8
        .value_kind:     global_buffer
      - .offset:         24
        .size:           4
        .value_kind:     by_value
    .group_segment_fixed_size: 512
    .kernarg_segment_align: 8
    .kernarg_segment_size: 28
    .language:       OpenCL C
    .language_version:
      - 2
      - 0
    .max_flat_workgroup_size: 256
    .name:           _Z6kernelI27subtract_right_partial_tileLj256ELj32ELb0EJPaPiS1_jEEvDpT3_
    .private_segment_fixed_size: 0
    .sgpr_count:     18
    .sgpr_spill_count: 0
    .symbol:         _Z6kernelI27subtract_right_partial_tileLj256ELj32ELb0EJPaPiS1_jEEvDpT3_.kd
    .uniform_work_group_size: 1
    .uses_dynamic_stack: false
    .vgpr_count:     94
    .vgpr_spill_count: 0
    .wavefront_size: 32
    .workgroup_processor_mode: 1
  - .args:
      - .address_space:  global
        .offset:         0
        .size:           8
        .value_kind:     global_buffer
      - .address_space:  global
        .offset:         8
        .size:           8
        .value_kind:     global_buffer
      - .address_space:  global
        .offset:         16
        .size:           8
        .value_kind:     global_buffer
      - .offset:         24
        .size:           4
        .value_kind:     by_value
    .group_segment_fixed_size: 4096
    .kernarg_segment_align: 8
    .kernarg_segment_size: 28
    .language:       OpenCL C
    .language_version:
      - 2
      - 0
    .max_flat_workgroup_size: 256
    .name:           _Z6kernelI27subtract_right_partial_tileLj256ELj1ELb0EJPxPiS1_jEEvDpT3_
    .private_segment_fixed_size: 0
    .sgpr_count:     18
    .sgpr_spill_count: 0
    .symbol:         _Z6kernelI27subtract_right_partial_tileLj256ELj1ELb0EJPxPiS1_jEEvDpT3_.kd
    .uniform_work_group_size: 1
    .uses_dynamic_stack: false
    .vgpr_count:     8
    .vgpr_spill_count: 0
    .wavefront_size: 32
    .workgroup_processor_mode: 1
  - .args:
      - .address_space:  global
        .offset:         0
        .size:           8
        .value_kind:     global_buffer
      - .address_space:  global
        .offset:         8
        .size:           8
        .value_kind:     global_buffer
      - .address_space:  global
        .offset:         16
        .size:           8
        .value_kind:     global_buffer
      - .offset:         24
        .size:           4
        .value_kind:     by_value
    .group_segment_fixed_size: 4096
    .kernarg_segment_align: 8
    .kernarg_segment_size: 28
    .language:       OpenCL C
    .language_version:
      - 2
      - 0
    .max_flat_workgroup_size: 256
    .name:           _Z6kernelI27subtract_right_partial_tileLj256ELj3ELb0EJPxPiS1_jEEvDpT3_
    .private_segment_fixed_size: 0
    .sgpr_count:     18
    .sgpr_spill_count: 0
    .symbol:         _Z6kernelI27subtract_right_partial_tileLj256ELj3ELb0EJPxPiS1_jEEvDpT3_.kd
    .uniform_work_group_size: 1
    .uses_dynamic_stack: false
    .vgpr_count:     18
    .vgpr_spill_count: 0
    .wavefront_size: 32
    .workgroup_processor_mode: 1
  - .args:
      - .address_space:  global
        .offset:         0
        .size:           8
        .value_kind:     global_buffer
      - .address_space:  global
        .offset:         8
        .size:           8
        .value_kind:     global_buffer
      - .address_space:  global
        .offset:         16
        .size:           8
        .value_kind:     global_buffer
      - .offset:         24
        .size:           4
        .value_kind:     by_value
    .group_segment_fixed_size: 4096
    .kernarg_segment_align: 8
    .kernarg_segment_size: 28
    .language:       OpenCL C
    .language_version:
      - 2
      - 0
    .max_flat_workgroup_size: 256
    .name:           _Z6kernelI27subtract_right_partial_tileLj256ELj4ELb0EJPxPiS1_jEEvDpT3_
    .private_segment_fixed_size: 0
    .sgpr_count:     18
    .sgpr_spill_count: 0
    .symbol:         _Z6kernelI27subtract_right_partial_tileLj256ELj4ELb0EJPxPiS1_jEEvDpT3_.kd
    .uniform_work_group_size: 1
    .uses_dynamic_stack: false
    .vgpr_count:     23
    .vgpr_spill_count: 0
    .wavefront_size: 32
    .workgroup_processor_mode: 1
  - .args:
      - .address_space:  global
        .offset:         0
        .size:           8
        .value_kind:     global_buffer
      - .address_space:  global
        .offset:         8
        .size:           8
        .value_kind:     global_buffer
      - .address_space:  global
        .offset:         16
        .size:           8
        .value_kind:     global_buffer
      - .offset:         24
        .size:           4
        .value_kind:     by_value
    .group_segment_fixed_size: 4096
    .kernarg_segment_align: 8
    .kernarg_segment_size: 28
    .language:       OpenCL C
    .language_version:
      - 2
      - 0
    .max_flat_workgroup_size: 256
    .name:           _Z6kernelI27subtract_right_partial_tileLj256ELj8ELb0EJPxPiS1_jEEvDpT3_
    .private_segment_fixed_size: 0
    .sgpr_count:     18
    .sgpr_spill_count: 0
    .symbol:         _Z6kernelI27subtract_right_partial_tileLj256ELj8ELb0EJPxPiS1_jEEvDpT3_.kd
    .uniform_work_group_size: 1
    .uses_dynamic_stack: false
    .vgpr_count:     43
    .vgpr_spill_count: 0
    .wavefront_size: 32
    .workgroup_processor_mode: 1
  - .args:
      - .address_space:  global
        .offset:         0
        .size:           8
        .value_kind:     global_buffer
      - .address_space:  global
        .offset:         8
        .size:           8
        .value_kind:     global_buffer
      - .address_space:  global
        .offset:         16
        .size:           8
        .value_kind:     global_buffer
      - .offset:         24
        .size:           4
        .value_kind:     by_value
    .group_segment_fixed_size: 4096
    .kernarg_segment_align: 8
    .kernarg_segment_size: 28
    .language:       OpenCL C
    .language_version:
      - 2
      - 0
    .max_flat_workgroup_size: 256
    .name:           _Z6kernelI27subtract_right_partial_tileLj256ELj16ELb0EJPxPiS1_jEEvDpT3_
    .private_segment_fixed_size: 0
    .sgpr_count:     18
    .sgpr_spill_count: 0
    .symbol:         _Z6kernelI27subtract_right_partial_tileLj256ELj16ELb0EJPxPiS1_jEEvDpT3_.kd
    .uniform_work_group_size: 1
    .uses_dynamic_stack: false
    .vgpr_count:     83
    .vgpr_spill_count: 0
    .wavefront_size: 32
    .workgroup_processor_mode: 1
  - .args:
      - .address_space:  global
        .offset:         0
        .size:           8
        .value_kind:     global_buffer
      - .address_space:  global
        .offset:         8
        .size:           8
        .value_kind:     global_buffer
      - .address_space:  global
        .offset:         16
        .size:           8
        .value_kind:     global_buffer
      - .offset:         24
        .size:           4
        .value_kind:     by_value
    .group_segment_fixed_size: 4096
    .kernarg_segment_align: 8
    .kernarg_segment_size: 28
    .language:       OpenCL C
    .language_version:
      - 2
      - 0
    .max_flat_workgroup_size: 256
    .name:           _Z6kernelI27subtract_right_partial_tileLj256ELj32ELb0EJPxPiS1_jEEvDpT3_
    .private_segment_fixed_size: 0
    .sgpr_count:     18
    .sgpr_spill_count: 0
    .symbol:         _Z6kernelI27subtract_right_partial_tileLj256ELj32ELb0EJPxPiS1_jEEvDpT3_.kd
    .uniform_work_group_size: 1
    .uses_dynamic_stack: false
    .vgpr_count:     114
    .vgpr_spill_count: 0
    .wavefront_size: 32
    .workgroup_processor_mode: 1
  - .args:
      - .address_space:  global
        .offset:         0
        .size:           8
        .value_kind:     global_buffer
      - .address_space:  global
        .offset:         8
        .size:           8
        .value_kind:     global_buffer
      - .address_space:  global
        .offset:         16
        .size:           8
        .value_kind:     global_buffer
      - .offset:         24
        .size:           4
        .value_kind:     by_value
    .group_segment_fixed_size: 4096
    .kernarg_segment_align: 8
    .kernarg_segment_size: 28
    .language:       OpenCL C
    .language_version:
      - 2
      - 0
    .max_flat_workgroup_size: 256
    .name:           _Z6kernelI27subtract_right_partial_tileLj256ELj1ELb0EJPdPiS1_jEEvDpT3_
    .private_segment_fixed_size: 0
    .sgpr_count:     16
    .sgpr_spill_count: 0
    .symbol:         _Z6kernelI27subtract_right_partial_tileLj256ELj1ELb0EJPdPiS1_jEEvDpT3_.kd
    .uniform_work_group_size: 1
    .uses_dynamic_stack: false
    .vgpr_count:     8
    .vgpr_spill_count: 0
    .wavefront_size: 32
    .workgroup_processor_mode: 1
  - .args:
      - .address_space:  global
        .offset:         0
        .size:           8
        .value_kind:     global_buffer
      - .address_space:  global
        .offset:         8
        .size:           8
        .value_kind:     global_buffer
      - .address_space:  global
        .offset:         16
        .size:           8
        .value_kind:     global_buffer
      - .offset:         24
        .size:           4
        .value_kind:     by_value
    .group_segment_fixed_size: 4096
    .kernarg_segment_align: 8
    .kernarg_segment_size: 28
    .language:       OpenCL C
    .language_version:
      - 2
      - 0
    .max_flat_workgroup_size: 256
    .name:           _Z6kernelI27subtract_right_partial_tileLj256ELj3ELb0EJPdPiS1_jEEvDpT3_
    .private_segment_fixed_size: 0
    .sgpr_count:     18
    .sgpr_spill_count: 0
    .symbol:         _Z6kernelI27subtract_right_partial_tileLj256ELj3ELb0EJPdPiS1_jEEvDpT3_.kd
    .uniform_work_group_size: 1
    .uses_dynamic_stack: false
    .vgpr_count:     18
    .vgpr_spill_count: 0
    .wavefront_size: 32
    .workgroup_processor_mode: 1
  - .args:
      - .address_space:  global
        .offset:         0
        .size:           8
        .value_kind:     global_buffer
      - .address_space:  global
        .offset:         8
        .size:           8
        .value_kind:     global_buffer
      - .address_space:  global
        .offset:         16
        .size:           8
        .value_kind:     global_buffer
      - .offset:         24
        .size:           4
        .value_kind:     by_value
    .group_segment_fixed_size: 4096
    .kernarg_segment_align: 8
    .kernarg_segment_size: 28
    .language:       OpenCL C
    .language_version:
      - 2
      - 0
    .max_flat_workgroup_size: 256
    .name:           _Z6kernelI27subtract_right_partial_tileLj256ELj4ELb0EJPdPiS1_jEEvDpT3_
    .private_segment_fixed_size: 0
    .sgpr_count:     18
    .sgpr_spill_count: 0
    .symbol:         _Z6kernelI27subtract_right_partial_tileLj256ELj4ELb0EJPdPiS1_jEEvDpT3_.kd
    .uniform_work_group_size: 1
    .uses_dynamic_stack: false
    .vgpr_count:     23
    .vgpr_spill_count: 0
    .wavefront_size: 32
    .workgroup_processor_mode: 1
  - .args:
      - .address_space:  global
        .offset:         0
        .size:           8
        .value_kind:     global_buffer
      - .address_space:  global
        .offset:         8
        .size:           8
        .value_kind:     global_buffer
      - .address_space:  global
        .offset:         16
        .size:           8
        .value_kind:     global_buffer
      - .offset:         24
        .size:           4
        .value_kind:     by_value
    .group_segment_fixed_size: 4096
    .kernarg_segment_align: 8
    .kernarg_segment_size: 28
    .language:       OpenCL C
    .language_version:
      - 2
      - 0
    .max_flat_workgroup_size: 256
    .name:           _Z6kernelI27subtract_right_partial_tileLj256ELj8ELb0EJPdPiS1_jEEvDpT3_
    .private_segment_fixed_size: 0
    .sgpr_count:     18
    .sgpr_spill_count: 0
    .symbol:         _Z6kernelI27subtract_right_partial_tileLj256ELj8ELb0EJPdPiS1_jEEvDpT3_.kd
    .uniform_work_group_size: 1
    .uses_dynamic_stack: false
    .vgpr_count:     43
    .vgpr_spill_count: 0
    .wavefront_size: 32
    .workgroup_processor_mode: 1
  - .args:
      - .address_space:  global
        .offset:         0
        .size:           8
        .value_kind:     global_buffer
      - .address_space:  global
        .offset:         8
        .size:           8
        .value_kind:     global_buffer
      - .address_space:  global
        .offset:         16
        .size:           8
        .value_kind:     global_buffer
      - .offset:         24
        .size:           4
        .value_kind:     by_value
    .group_segment_fixed_size: 4096
    .kernarg_segment_align: 8
    .kernarg_segment_size: 28
    .language:       OpenCL C
    .language_version:
      - 2
      - 0
    .max_flat_workgroup_size: 256
    .name:           _Z6kernelI27subtract_right_partial_tileLj256ELj16ELb0EJPdPiS1_jEEvDpT3_
    .private_segment_fixed_size: 0
    .sgpr_count:     18
    .sgpr_spill_count: 0
    .symbol:         _Z6kernelI27subtract_right_partial_tileLj256ELj16ELb0EJPdPiS1_jEEvDpT3_.kd
    .uniform_work_group_size: 1
    .uses_dynamic_stack: false
    .vgpr_count:     83
    .vgpr_spill_count: 0
    .wavefront_size: 32
    .workgroup_processor_mode: 1
  - .args:
      - .address_space:  global
        .offset:         0
        .size:           8
        .value_kind:     global_buffer
      - .address_space:  global
        .offset:         8
        .size:           8
        .value_kind:     global_buffer
      - .address_space:  global
        .offset:         16
        .size:           8
        .value_kind:     global_buffer
      - .offset:         24
        .size:           4
        .value_kind:     by_value
    .group_segment_fixed_size: 4096
    .kernarg_segment_align: 8
    .kernarg_segment_size: 28
    .language:       OpenCL C
    .language_version:
      - 2
      - 0
    .max_flat_workgroup_size: 256
    .name:           _Z6kernelI27subtract_right_partial_tileLj256ELj32ELb0EJPdPiS1_jEEvDpT3_
    .private_segment_fixed_size: 0
    .sgpr_count:     18
    .sgpr_spill_count: 0
    .symbol:         _Z6kernelI27subtract_right_partial_tileLj256ELj32ELb0EJPdPiS1_jEEvDpT3_.kd
    .uniform_work_group_size: 1
    .uses_dynamic_stack: false
    .vgpr_count:     163
    .vgpr_spill_count: 0
    .wavefront_size: 32
    .workgroup_processor_mode: 1
  - .args:
      - .address_space:  global
        .offset:         0
        .size:           8
        .value_kind:     global_buffer
      - .address_space:  global
        .offset:         8
        .size:           8
        .value_kind:     global_buffer
      - .address_space:  global
        .offset:         16
        .size:           8
        .value_kind:     global_buffer
      - .offset:         24
        .size:           4
        .value_kind:     by_value
    .group_segment_fixed_size: 2048
    .kernarg_segment_align: 8
    .kernarg_segment_size: 28
    .language:       OpenCL C
    .language_version:
      - 2
      - 0
    .max_flat_workgroup_size: 256
    .name:           _Z6kernelI27subtract_right_partial_tileLj256ELj1ELb1EJPiS1_S1_jEEvDpT3_
    .private_segment_fixed_size: 0
    .sgpr_count:     16
    .sgpr_spill_count: 0
    .symbol:         _Z6kernelI27subtract_right_partial_tileLj256ELj1ELb1EJPiS1_S1_jEEvDpT3_.kd
    .uniform_work_group_size: 1
    .uses_dynamic_stack: false
    .vgpr_count:     6
    .vgpr_spill_count: 0
    .wavefront_size: 32
    .workgroup_processor_mode: 1
  - .args:
      - .address_space:  global
        .offset:         0
        .size:           8
        .value_kind:     global_buffer
      - .address_space:  global
        .offset:         8
        .size:           8
        .value_kind:     global_buffer
      - .address_space:  global
        .offset:         16
        .size:           8
        .value_kind:     global_buffer
      - .offset:         24
        .size:           4
        .value_kind:     by_value
    .group_segment_fixed_size: 2048
    .kernarg_segment_align: 8
    .kernarg_segment_size: 28
    .language:       OpenCL C
    .language_version:
      - 2
      - 0
    .max_flat_workgroup_size: 256
    .name:           _Z6kernelI27subtract_right_partial_tileLj256ELj3ELb1EJPiS1_S1_jEEvDpT3_
    .private_segment_fixed_size: 0
    .sgpr_count:     18
    .sgpr_spill_count: 0
    .symbol:         _Z6kernelI27subtract_right_partial_tileLj256ELj3ELb1EJPiS1_S1_jEEvDpT3_.kd
    .uniform_work_group_size: 1
    .uses_dynamic_stack: false
    .vgpr_count:     12
    .vgpr_spill_count: 0
    .wavefront_size: 32
    .workgroup_processor_mode: 1
  - .args:
      - .address_space:  global
        .offset:         0
        .size:           8
        .value_kind:     global_buffer
      - .address_space:  global
        .offset:         8
        .size:           8
        .value_kind:     global_buffer
      - .address_space:  global
        .offset:         16
        .size:           8
        .value_kind:     global_buffer
      - .offset:         24
        .size:           4
        .value_kind:     by_value
    .group_segment_fixed_size: 2048
    .kernarg_segment_align: 8
    .kernarg_segment_size: 28
    .language:       OpenCL C
    .language_version:
      - 2
      - 0
    .max_flat_workgroup_size: 256
    .name:           _Z6kernelI27subtract_right_partial_tileLj256ELj4ELb1EJPiS1_S1_jEEvDpT3_
    .private_segment_fixed_size: 0
    .sgpr_count:     18
    .sgpr_spill_count: 0
    .symbol:         _Z6kernelI27subtract_right_partial_tileLj256ELj4ELb1EJPiS1_S1_jEEvDpT3_.kd
    .uniform_work_group_size: 1
    .uses_dynamic_stack: false
    .vgpr_count:     15
    .vgpr_spill_count: 0
    .wavefront_size: 32
    .workgroup_processor_mode: 1
  - .args:
      - .address_space:  global
        .offset:         0
        .size:           8
        .value_kind:     global_buffer
      - .address_space:  global
        .offset:         8
        .size:           8
        .value_kind:     global_buffer
      - .address_space:  global
        .offset:         16
        .size:           8
        .value_kind:     global_buffer
      - .offset:         24
        .size:           4
        .value_kind:     by_value
    .group_segment_fixed_size: 2048
    .kernarg_segment_align: 8
    .kernarg_segment_size: 28
    .language:       OpenCL C
    .language_version:
      - 2
      - 0
    .max_flat_workgroup_size: 256
    .name:           _Z6kernelI27subtract_right_partial_tileLj256ELj8ELb1EJPiS1_S1_jEEvDpT3_
    .private_segment_fixed_size: 0
    .sgpr_count:     18
    .sgpr_spill_count: 0
    .symbol:         _Z6kernelI27subtract_right_partial_tileLj256ELj8ELb1EJPiS1_S1_jEEvDpT3_.kd
    .uniform_work_group_size: 1
    .uses_dynamic_stack: false
    .vgpr_count:     27
    .vgpr_spill_count: 0
    .wavefront_size: 32
    .workgroup_processor_mode: 1
  - .args:
      - .address_space:  global
        .offset:         0
        .size:           8
        .value_kind:     global_buffer
      - .address_space:  global
        .offset:         8
        .size:           8
        .value_kind:     global_buffer
      - .address_space:  global
        .offset:         16
        .size:           8
        .value_kind:     global_buffer
      - .offset:         24
        .size:           4
        .value_kind:     by_value
    .group_segment_fixed_size: 2048
    .kernarg_segment_align: 8
    .kernarg_segment_size: 28
    .language:       OpenCL C
    .language_version:
      - 2
      - 0
    .max_flat_workgroup_size: 256
    .name:           _Z6kernelI27subtract_right_partial_tileLj256ELj16ELb1EJPiS1_S1_jEEvDpT3_
    .private_segment_fixed_size: 0
    .sgpr_count:     18
    .sgpr_spill_count: 0
    .symbol:         _Z6kernelI27subtract_right_partial_tileLj256ELj16ELb1EJPiS1_S1_jEEvDpT3_.kd
    .uniform_work_group_size: 1
    .uses_dynamic_stack: false
    .vgpr_count:     51
    .vgpr_spill_count: 0
    .wavefront_size: 32
    .workgroup_processor_mode: 1
  - .args:
      - .address_space:  global
        .offset:         0
        .size:           8
        .value_kind:     global_buffer
      - .address_space:  global
        .offset:         8
        .size:           8
        .value_kind:     global_buffer
      - .address_space:  global
        .offset:         16
        .size:           8
        .value_kind:     global_buffer
      - .offset:         24
        .size:           4
        .value_kind:     by_value
    .group_segment_fixed_size: 2048
    .kernarg_segment_align: 8
    .kernarg_segment_size: 28
    .language:       OpenCL C
    .language_version:
      - 2
      - 0
    .max_flat_workgroup_size: 256
    .name:           _Z6kernelI27subtract_right_partial_tileLj256ELj32ELb1EJPiS1_S1_jEEvDpT3_
    .private_segment_fixed_size: 0
    .sgpr_count:     18
    .sgpr_spill_count: 0
    .symbol:         _Z6kernelI27subtract_right_partial_tileLj256ELj32ELb1EJPiS1_S1_jEEvDpT3_.kd
    .uniform_work_group_size: 1
    .uses_dynamic_stack: false
    .vgpr_count:     89
    .vgpr_spill_count: 0
    .wavefront_size: 32
    .workgroup_processor_mode: 1
  - .args:
      - .address_space:  global
        .offset:         0
        .size:           8
        .value_kind:     global_buffer
      - .address_space:  global
        .offset:         8
        .size:           8
        .value_kind:     global_buffer
      - .address_space:  global
        .offset:         16
        .size:           8
        .value_kind:     global_buffer
      - .offset:         24
        .size:           4
        .value_kind:     by_value
    .group_segment_fixed_size: 2048
    .kernarg_segment_align: 8
    .kernarg_segment_size: 28
    .language:       OpenCL C
    .language_version:
      - 2
      - 0
    .max_flat_workgroup_size: 256
    .name:           _Z6kernelI27subtract_right_partial_tileLj256ELj1ELb1EJPfPiS1_jEEvDpT3_
    .private_segment_fixed_size: 0
    .sgpr_count:     16
    .sgpr_spill_count: 0
    .symbol:         _Z6kernelI27subtract_right_partial_tileLj256ELj1ELb1EJPfPiS1_jEEvDpT3_.kd
    .uniform_work_group_size: 1
    .uses_dynamic_stack: false
    .vgpr_count:     6
    .vgpr_spill_count: 0
    .wavefront_size: 32
    .workgroup_processor_mode: 1
  - .args:
      - .address_space:  global
        .offset:         0
        .size:           8
        .value_kind:     global_buffer
      - .address_space:  global
        .offset:         8
        .size:           8
        .value_kind:     global_buffer
      - .address_space:  global
        .offset:         16
        .size:           8
        .value_kind:     global_buffer
      - .offset:         24
        .size:           4
        .value_kind:     by_value
    .group_segment_fixed_size: 2048
    .kernarg_segment_align: 8
    .kernarg_segment_size: 28
    .language:       OpenCL C
    .language_version:
      - 2
      - 0
    .max_flat_workgroup_size: 256
    .name:           _Z6kernelI27subtract_right_partial_tileLj256ELj3ELb1EJPfPiS1_jEEvDpT3_
    .private_segment_fixed_size: 0
    .sgpr_count:     18
    .sgpr_spill_count: 0
    .symbol:         _Z6kernelI27subtract_right_partial_tileLj256ELj3ELb1EJPfPiS1_jEEvDpT3_.kd
    .uniform_work_group_size: 1
    .uses_dynamic_stack: false
    .vgpr_count:     12
    .vgpr_spill_count: 0
    .wavefront_size: 32
    .workgroup_processor_mode: 1
  - .args:
      - .address_space:  global
        .offset:         0
        .size:           8
        .value_kind:     global_buffer
      - .address_space:  global
        .offset:         8
        .size:           8
        .value_kind:     global_buffer
      - .address_space:  global
        .offset:         16
        .size:           8
        .value_kind:     global_buffer
      - .offset:         24
        .size:           4
        .value_kind:     by_value
    .group_segment_fixed_size: 2048
    .kernarg_segment_align: 8
    .kernarg_segment_size: 28
    .language:       OpenCL C
    .language_version:
      - 2
      - 0
    .max_flat_workgroup_size: 256
    .name:           _Z6kernelI27subtract_right_partial_tileLj256ELj4ELb1EJPfPiS1_jEEvDpT3_
    .private_segment_fixed_size: 0
    .sgpr_count:     18
    .sgpr_spill_count: 0
    .symbol:         _Z6kernelI27subtract_right_partial_tileLj256ELj4ELb1EJPfPiS1_jEEvDpT3_.kd
    .uniform_work_group_size: 1
    .uses_dynamic_stack: false
    .vgpr_count:     15
    .vgpr_spill_count: 0
    .wavefront_size: 32
    .workgroup_processor_mode: 1
  - .args:
      - .address_space:  global
        .offset:         0
        .size:           8
        .value_kind:     global_buffer
      - .address_space:  global
        .offset:         8
        .size:           8
        .value_kind:     global_buffer
      - .address_space:  global
        .offset:         16
        .size:           8
        .value_kind:     global_buffer
      - .offset:         24
        .size:           4
        .value_kind:     by_value
    .group_segment_fixed_size: 2048
    .kernarg_segment_align: 8
    .kernarg_segment_size: 28
    .language:       OpenCL C
    .language_version:
      - 2
      - 0
    .max_flat_workgroup_size: 256
    .name:           _Z6kernelI27subtract_right_partial_tileLj256ELj8ELb1EJPfPiS1_jEEvDpT3_
    .private_segment_fixed_size: 0
    .sgpr_count:     18
    .sgpr_spill_count: 0
    .symbol:         _Z6kernelI27subtract_right_partial_tileLj256ELj8ELb1EJPfPiS1_jEEvDpT3_.kd
    .uniform_work_group_size: 1
    .uses_dynamic_stack: false
    .vgpr_count:     27
    .vgpr_spill_count: 0
    .wavefront_size: 32
    .workgroup_processor_mode: 1
  - .args:
      - .address_space:  global
        .offset:         0
        .size:           8
        .value_kind:     global_buffer
      - .address_space:  global
        .offset:         8
        .size:           8
        .value_kind:     global_buffer
      - .address_space:  global
        .offset:         16
        .size:           8
        .value_kind:     global_buffer
      - .offset:         24
        .size:           4
        .value_kind:     by_value
    .group_segment_fixed_size: 2048
    .kernarg_segment_align: 8
    .kernarg_segment_size: 28
    .language:       OpenCL C
    .language_version:
      - 2
      - 0
    .max_flat_workgroup_size: 256
    .name:           _Z6kernelI27subtract_right_partial_tileLj256ELj16ELb1EJPfPiS1_jEEvDpT3_
    .private_segment_fixed_size: 0
    .sgpr_count:     18
    .sgpr_spill_count: 0
    .symbol:         _Z6kernelI27subtract_right_partial_tileLj256ELj16ELb1EJPfPiS1_jEEvDpT3_.kd
    .uniform_work_group_size: 1
    .uses_dynamic_stack: false
    .vgpr_count:     51
    .vgpr_spill_count: 0
    .wavefront_size: 32
    .workgroup_processor_mode: 1
  - .args:
      - .address_space:  global
        .offset:         0
        .size:           8
        .value_kind:     global_buffer
      - .address_space:  global
        .offset:         8
        .size:           8
        .value_kind:     global_buffer
      - .address_space:  global
        .offset:         16
        .size:           8
        .value_kind:     global_buffer
      - .offset:         24
        .size:           4
        .value_kind:     by_value
    .group_segment_fixed_size: 2048
    .kernarg_segment_align: 8
    .kernarg_segment_size: 28
    .language:       OpenCL C
    .language_version:
      - 2
      - 0
    .max_flat_workgroup_size: 256
    .name:           _Z6kernelI27subtract_right_partial_tileLj256ELj32ELb1EJPfPiS1_jEEvDpT3_
    .private_segment_fixed_size: 0
    .sgpr_count:     18
    .sgpr_spill_count: 0
    .symbol:         _Z6kernelI27subtract_right_partial_tileLj256ELj32ELb1EJPfPiS1_jEEvDpT3_.kd
    .uniform_work_group_size: 1
    .uses_dynamic_stack: false
    .vgpr_count:     89
    .vgpr_spill_count: 0
    .wavefront_size: 32
    .workgroup_processor_mode: 1
  - .args:
      - .address_space:  global
        .offset:         0
        .size:           8
        .value_kind:     global_buffer
      - .address_space:  global
        .offset:         8
        .size:           8
        .value_kind:     global_buffer
      - .address_space:  global
        .offset:         16
        .size:           8
        .value_kind:     global_buffer
      - .offset:         24
        .size:           4
        .value_kind:     by_value
    .group_segment_fixed_size: 512
    .kernarg_segment_align: 8
    .kernarg_segment_size: 28
    .language:       OpenCL C
    .language_version:
      - 2
      - 0
    .max_flat_workgroup_size: 256
    .name:           _Z6kernelI27subtract_right_partial_tileLj256ELj1ELb1EJPaPiS1_jEEvDpT3_
    .private_segment_fixed_size: 0
    .sgpr_count:     16
    .sgpr_spill_count: 0
    .symbol:         _Z6kernelI27subtract_right_partial_tileLj256ELj1ELb1EJPaPiS1_jEEvDpT3_.kd
    .uniform_work_group_size: 1
    .uses_dynamic_stack: false
    .vgpr_count:     4
    .vgpr_spill_count: 0
    .wavefront_size: 32
    .workgroup_processor_mode: 1
  - .args:
      - .address_space:  global
        .offset:         0
        .size:           8
        .value_kind:     global_buffer
      - .address_space:  global
        .offset:         8
        .size:           8
        .value_kind:     global_buffer
      - .address_space:  global
        .offset:         16
        .size:           8
        .value_kind:     global_buffer
      - .offset:         24
        .size:           4
        .value_kind:     by_value
    .group_segment_fixed_size: 512
    .kernarg_segment_align: 8
    .kernarg_segment_size: 28
    .language:       OpenCL C
    .language_version:
      - 2
      - 0
    .max_flat_workgroup_size: 256
    .name:           _Z6kernelI27subtract_right_partial_tileLj256ELj3ELb1EJPaPiS1_jEEvDpT3_
    .private_segment_fixed_size: 0
    .sgpr_count:     18
    .sgpr_spill_count: 0
    .symbol:         _Z6kernelI27subtract_right_partial_tileLj256ELj3ELb1EJPaPiS1_jEEvDpT3_.kd
    .uniform_work_group_size: 1
    .uses_dynamic_stack: false
    .vgpr_count:     11
    .vgpr_spill_count: 0
    .wavefront_size: 32
    .workgroup_processor_mode: 1
  - .args:
      - .address_space:  global
        .offset:         0
        .size:           8
        .value_kind:     global_buffer
      - .address_space:  global
        .offset:         8
        .size:           8
        .value_kind:     global_buffer
      - .address_space:  global
        .offset:         16
        .size:           8
        .value_kind:     global_buffer
      - .offset:         24
        .size:           4
        .value_kind:     by_value
    .group_segment_fixed_size: 512
    .kernarg_segment_align: 8
    .kernarg_segment_size: 28
    .language:       OpenCL C
    .language_version:
      - 2
      - 0
    .max_flat_workgroup_size: 256
    .name:           _Z6kernelI27subtract_right_partial_tileLj256ELj4ELb1EJPaPiS1_jEEvDpT3_
    .private_segment_fixed_size: 0
    .sgpr_count:     18
    .sgpr_spill_count: 0
    .symbol:         _Z6kernelI27subtract_right_partial_tileLj256ELj4ELb1EJPaPiS1_jEEvDpT3_.kd
    .uniform_work_group_size: 1
    .uses_dynamic_stack: false
    .vgpr_count:     15
    .vgpr_spill_count: 0
    .wavefront_size: 32
    .workgroup_processor_mode: 1
  - .args:
      - .address_space:  global
        .offset:         0
        .size:           8
        .value_kind:     global_buffer
      - .address_space:  global
        .offset:         8
        .size:           8
        .value_kind:     global_buffer
      - .address_space:  global
        .offset:         16
        .size:           8
        .value_kind:     global_buffer
      - .offset:         24
        .size:           4
        .value_kind:     by_value
    .group_segment_fixed_size: 512
    .kernarg_segment_align: 8
    .kernarg_segment_size: 28
    .language:       OpenCL C
    .language_version:
      - 2
      - 0
    .max_flat_workgroup_size: 256
    .name:           _Z6kernelI27subtract_right_partial_tileLj256ELj8ELb1EJPaPiS1_jEEvDpT3_
    .private_segment_fixed_size: 0
    .sgpr_count:     18
    .sgpr_spill_count: 0
    .symbol:         _Z6kernelI27subtract_right_partial_tileLj256ELj8ELb1EJPaPiS1_jEEvDpT3_.kd
    .uniform_work_group_size: 1
    .uses_dynamic_stack: false
    .vgpr_count:     28
    .vgpr_spill_count: 0
    .wavefront_size: 32
    .workgroup_processor_mode: 1
  - .args:
      - .address_space:  global
        .offset:         0
        .size:           8
        .value_kind:     global_buffer
      - .address_space:  global
        .offset:         8
        .size:           8
        .value_kind:     global_buffer
      - .address_space:  global
        .offset:         16
        .size:           8
        .value_kind:     global_buffer
      - .offset:         24
        .size:           4
        .value_kind:     by_value
    .group_segment_fixed_size: 512
    .kernarg_segment_align: 8
    .kernarg_segment_size: 28
    .language:       OpenCL C
    .language_version:
      - 2
      - 0
    .max_flat_workgroup_size: 256
    .name:           _Z6kernelI27subtract_right_partial_tileLj256ELj16ELb1EJPaPiS1_jEEvDpT3_
    .private_segment_fixed_size: 0
    .sgpr_count:     18
    .sgpr_spill_count: 0
    .symbol:         _Z6kernelI27subtract_right_partial_tileLj256ELj16ELb1EJPaPiS1_jEEvDpT3_.kd
    .uniform_work_group_size: 1
    .uses_dynamic_stack: false
    .vgpr_count:     52
    .vgpr_spill_count: 0
    .wavefront_size: 32
    .workgroup_processor_mode: 1
  - .args:
      - .address_space:  global
        .offset:         0
        .size:           8
        .value_kind:     global_buffer
      - .address_space:  global
        .offset:         8
        .size:           8
        .value_kind:     global_buffer
      - .address_space:  global
        .offset:         16
        .size:           8
        .value_kind:     global_buffer
      - .offset:         24
        .size:           4
        .value_kind:     by_value
    .group_segment_fixed_size: 512
    .kernarg_segment_align: 8
    .kernarg_segment_size: 28
    .language:       OpenCL C
    .language_version:
      - 2
      - 0
    .max_flat_workgroup_size: 256
    .name:           _Z6kernelI27subtract_right_partial_tileLj256ELj32ELb1EJPaPiS1_jEEvDpT3_
    .private_segment_fixed_size: 0
    .sgpr_count:     18
    .sgpr_spill_count: 0
    .symbol:         _Z6kernelI27subtract_right_partial_tileLj256ELj32ELb1EJPaPiS1_jEEvDpT3_.kd
    .uniform_work_group_size: 1
    .uses_dynamic_stack: false
    .vgpr_count:     94
    .vgpr_spill_count: 0
    .wavefront_size: 32
    .workgroup_processor_mode: 1
  - .args:
      - .address_space:  global
        .offset:         0
        .size:           8
        .value_kind:     global_buffer
      - .address_space:  global
        .offset:         8
        .size:           8
        .value_kind:     global_buffer
      - .address_space:  global
        .offset:         16
        .size:           8
        .value_kind:     global_buffer
      - .offset:         24
        .size:           4
        .value_kind:     by_value
    .group_segment_fixed_size: 4096
    .kernarg_segment_align: 8
    .kernarg_segment_size: 28
    .language:       OpenCL C
    .language_version:
      - 2
      - 0
    .max_flat_workgroup_size: 256
    .name:           _Z6kernelI27subtract_right_partial_tileLj256ELj1ELb1EJPxPiS1_jEEvDpT3_
    .private_segment_fixed_size: 0
    .sgpr_count:     18
    .sgpr_spill_count: 0
    .symbol:         _Z6kernelI27subtract_right_partial_tileLj256ELj1ELb1EJPxPiS1_jEEvDpT3_.kd
    .uniform_work_group_size: 1
    .uses_dynamic_stack: false
    .vgpr_count:     8
    .vgpr_spill_count: 0
    .wavefront_size: 32
    .workgroup_processor_mode: 1
  - .args:
      - .address_space:  global
        .offset:         0
        .size:           8
        .value_kind:     global_buffer
      - .address_space:  global
        .offset:         8
        .size:           8
        .value_kind:     global_buffer
      - .address_space:  global
        .offset:         16
        .size:           8
        .value_kind:     global_buffer
      - .offset:         24
        .size:           4
        .value_kind:     by_value
    .group_segment_fixed_size: 4096
    .kernarg_segment_align: 8
    .kernarg_segment_size: 28
    .language:       OpenCL C
    .language_version:
      - 2
      - 0
    .max_flat_workgroup_size: 256
    .name:           _Z6kernelI27subtract_right_partial_tileLj256ELj3ELb1EJPxPiS1_jEEvDpT3_
    .private_segment_fixed_size: 0
    .sgpr_count:     18
    .sgpr_spill_count: 0
    .symbol:         _Z6kernelI27subtract_right_partial_tileLj256ELj3ELb1EJPxPiS1_jEEvDpT3_.kd
    .uniform_work_group_size: 1
    .uses_dynamic_stack: false
    .vgpr_count:     18
    .vgpr_spill_count: 0
    .wavefront_size: 32
    .workgroup_processor_mode: 1
  - .args:
      - .address_space:  global
        .offset:         0
        .size:           8
        .value_kind:     global_buffer
      - .address_space:  global
        .offset:         8
        .size:           8
        .value_kind:     global_buffer
      - .address_space:  global
        .offset:         16
        .size:           8
        .value_kind:     global_buffer
      - .offset:         24
        .size:           4
        .value_kind:     by_value
    .group_segment_fixed_size: 4096
    .kernarg_segment_align: 8
    .kernarg_segment_size: 28
    .language:       OpenCL C
    .language_version:
      - 2
      - 0
    .max_flat_workgroup_size: 256
    .name:           _Z6kernelI27subtract_right_partial_tileLj256ELj4ELb1EJPxPiS1_jEEvDpT3_
    .private_segment_fixed_size: 0
    .sgpr_count:     18
    .sgpr_spill_count: 0
    .symbol:         _Z6kernelI27subtract_right_partial_tileLj256ELj4ELb1EJPxPiS1_jEEvDpT3_.kd
    .uniform_work_group_size: 1
    .uses_dynamic_stack: false
    .vgpr_count:     23
    .vgpr_spill_count: 0
    .wavefront_size: 32
    .workgroup_processor_mode: 1
  - .args:
      - .address_space:  global
        .offset:         0
        .size:           8
        .value_kind:     global_buffer
      - .address_space:  global
        .offset:         8
        .size:           8
        .value_kind:     global_buffer
      - .address_space:  global
        .offset:         16
        .size:           8
        .value_kind:     global_buffer
      - .offset:         24
        .size:           4
        .value_kind:     by_value
    .group_segment_fixed_size: 4096
    .kernarg_segment_align: 8
    .kernarg_segment_size: 28
    .language:       OpenCL C
    .language_version:
      - 2
      - 0
    .max_flat_workgroup_size: 256
    .name:           _Z6kernelI27subtract_right_partial_tileLj256ELj8ELb1EJPxPiS1_jEEvDpT3_
    .private_segment_fixed_size: 0
    .sgpr_count:     18
    .sgpr_spill_count: 0
    .symbol:         _Z6kernelI27subtract_right_partial_tileLj256ELj8ELb1EJPxPiS1_jEEvDpT3_.kd
    .uniform_work_group_size: 1
    .uses_dynamic_stack: false
    .vgpr_count:     43
    .vgpr_spill_count: 0
    .wavefront_size: 32
    .workgroup_processor_mode: 1
  - .args:
      - .address_space:  global
        .offset:         0
        .size:           8
        .value_kind:     global_buffer
      - .address_space:  global
        .offset:         8
        .size:           8
        .value_kind:     global_buffer
      - .address_space:  global
        .offset:         16
        .size:           8
        .value_kind:     global_buffer
      - .offset:         24
        .size:           4
        .value_kind:     by_value
    .group_segment_fixed_size: 4096
    .kernarg_segment_align: 8
    .kernarg_segment_size: 28
    .language:       OpenCL C
    .language_version:
      - 2
      - 0
    .max_flat_workgroup_size: 256
    .name:           _Z6kernelI27subtract_right_partial_tileLj256ELj16ELb1EJPxPiS1_jEEvDpT3_
    .private_segment_fixed_size: 0
    .sgpr_count:     18
    .sgpr_spill_count: 0
    .symbol:         _Z6kernelI27subtract_right_partial_tileLj256ELj16ELb1EJPxPiS1_jEEvDpT3_.kd
    .uniform_work_group_size: 1
    .uses_dynamic_stack: false
    .vgpr_count:     83
    .vgpr_spill_count: 0
    .wavefront_size: 32
    .workgroup_processor_mode: 1
  - .args:
      - .address_space:  global
        .offset:         0
        .size:           8
        .value_kind:     global_buffer
      - .address_space:  global
        .offset:         8
        .size:           8
        .value_kind:     global_buffer
      - .address_space:  global
        .offset:         16
        .size:           8
        .value_kind:     global_buffer
      - .offset:         24
        .size:           4
        .value_kind:     by_value
    .group_segment_fixed_size: 4096
    .kernarg_segment_align: 8
    .kernarg_segment_size: 28
    .language:       OpenCL C
    .language_version:
      - 2
      - 0
    .max_flat_workgroup_size: 256
    .name:           _Z6kernelI27subtract_right_partial_tileLj256ELj32ELb1EJPxPiS1_jEEvDpT3_
    .private_segment_fixed_size: 0
    .sgpr_count:     18
    .sgpr_spill_count: 0
    .symbol:         _Z6kernelI27subtract_right_partial_tileLj256ELj32ELb1EJPxPiS1_jEEvDpT3_.kd
    .uniform_work_group_size: 1
    .uses_dynamic_stack: false
    .vgpr_count:     114
    .vgpr_spill_count: 0
    .wavefront_size: 32
    .workgroup_processor_mode: 1
  - .args:
      - .address_space:  global
        .offset:         0
        .size:           8
        .value_kind:     global_buffer
      - .address_space:  global
        .offset:         8
        .size:           8
        .value_kind:     global_buffer
      - .address_space:  global
        .offset:         16
        .size:           8
        .value_kind:     global_buffer
      - .offset:         24
        .size:           4
        .value_kind:     by_value
    .group_segment_fixed_size: 4096
    .kernarg_segment_align: 8
    .kernarg_segment_size: 28
    .language:       OpenCL C
    .language_version:
      - 2
      - 0
    .max_flat_workgroup_size: 256
    .name:           _Z6kernelI27subtract_right_partial_tileLj256ELj1ELb1EJPdPiS1_jEEvDpT3_
    .private_segment_fixed_size: 0
    .sgpr_count:     16
    .sgpr_spill_count: 0
    .symbol:         _Z6kernelI27subtract_right_partial_tileLj256ELj1ELb1EJPdPiS1_jEEvDpT3_.kd
    .uniform_work_group_size: 1
    .uses_dynamic_stack: false
    .vgpr_count:     8
    .vgpr_spill_count: 0
    .wavefront_size: 32
    .workgroup_processor_mode: 1
  - .args:
      - .address_space:  global
        .offset:         0
        .size:           8
        .value_kind:     global_buffer
      - .address_space:  global
        .offset:         8
        .size:           8
        .value_kind:     global_buffer
      - .address_space:  global
        .offset:         16
        .size:           8
        .value_kind:     global_buffer
      - .offset:         24
        .size:           4
        .value_kind:     by_value
    .group_segment_fixed_size: 4096
    .kernarg_segment_align: 8
    .kernarg_segment_size: 28
    .language:       OpenCL C
    .language_version:
      - 2
      - 0
    .max_flat_workgroup_size: 256
    .name:           _Z6kernelI27subtract_right_partial_tileLj256ELj3ELb1EJPdPiS1_jEEvDpT3_
    .private_segment_fixed_size: 0
    .sgpr_count:     18
    .sgpr_spill_count: 0
    .symbol:         _Z6kernelI27subtract_right_partial_tileLj256ELj3ELb1EJPdPiS1_jEEvDpT3_.kd
    .uniform_work_group_size: 1
    .uses_dynamic_stack: false
    .vgpr_count:     18
    .vgpr_spill_count: 0
    .wavefront_size: 32
    .workgroup_processor_mode: 1
  - .args:
      - .address_space:  global
        .offset:         0
        .size:           8
        .value_kind:     global_buffer
      - .address_space:  global
        .offset:         8
        .size:           8
        .value_kind:     global_buffer
      - .address_space:  global
        .offset:         16
        .size:           8
        .value_kind:     global_buffer
      - .offset:         24
        .size:           4
        .value_kind:     by_value
    .group_segment_fixed_size: 4096
    .kernarg_segment_align: 8
    .kernarg_segment_size: 28
    .language:       OpenCL C
    .language_version:
      - 2
      - 0
    .max_flat_workgroup_size: 256
    .name:           _Z6kernelI27subtract_right_partial_tileLj256ELj4ELb1EJPdPiS1_jEEvDpT3_
    .private_segment_fixed_size: 0
    .sgpr_count:     18
    .sgpr_spill_count: 0
    .symbol:         _Z6kernelI27subtract_right_partial_tileLj256ELj4ELb1EJPdPiS1_jEEvDpT3_.kd
    .uniform_work_group_size: 1
    .uses_dynamic_stack: false
    .vgpr_count:     23
    .vgpr_spill_count: 0
    .wavefront_size: 32
    .workgroup_processor_mode: 1
  - .args:
      - .address_space:  global
        .offset:         0
        .size:           8
        .value_kind:     global_buffer
      - .address_space:  global
        .offset:         8
        .size:           8
        .value_kind:     global_buffer
      - .address_space:  global
        .offset:         16
        .size:           8
        .value_kind:     global_buffer
      - .offset:         24
        .size:           4
        .value_kind:     by_value
    .group_segment_fixed_size: 4096
    .kernarg_segment_align: 8
    .kernarg_segment_size: 28
    .language:       OpenCL C
    .language_version:
      - 2
      - 0
    .max_flat_workgroup_size: 256
    .name:           _Z6kernelI27subtract_right_partial_tileLj256ELj8ELb1EJPdPiS1_jEEvDpT3_
    .private_segment_fixed_size: 0
    .sgpr_count:     18
    .sgpr_spill_count: 0
    .symbol:         _Z6kernelI27subtract_right_partial_tileLj256ELj8ELb1EJPdPiS1_jEEvDpT3_.kd
    .uniform_work_group_size: 1
    .uses_dynamic_stack: false
    .vgpr_count:     43
    .vgpr_spill_count: 0
    .wavefront_size: 32
    .workgroup_processor_mode: 1
  - .args:
      - .address_space:  global
        .offset:         0
        .size:           8
        .value_kind:     global_buffer
      - .address_space:  global
        .offset:         8
        .size:           8
        .value_kind:     global_buffer
      - .address_space:  global
        .offset:         16
        .size:           8
        .value_kind:     global_buffer
      - .offset:         24
        .size:           4
        .value_kind:     by_value
    .group_segment_fixed_size: 4096
    .kernarg_segment_align: 8
    .kernarg_segment_size: 28
    .language:       OpenCL C
    .language_version:
      - 2
      - 0
    .max_flat_workgroup_size: 256
    .name:           _Z6kernelI27subtract_right_partial_tileLj256ELj16ELb1EJPdPiS1_jEEvDpT3_
    .private_segment_fixed_size: 0
    .sgpr_count:     18
    .sgpr_spill_count: 0
    .symbol:         _Z6kernelI27subtract_right_partial_tileLj256ELj16ELb1EJPdPiS1_jEEvDpT3_.kd
    .uniform_work_group_size: 1
    .uses_dynamic_stack: false
    .vgpr_count:     83
    .vgpr_spill_count: 0
    .wavefront_size: 32
    .workgroup_processor_mode: 1
  - .args:
      - .address_space:  global
        .offset:         0
        .size:           8
        .value_kind:     global_buffer
      - .address_space:  global
        .offset:         8
        .size:           8
        .value_kind:     global_buffer
      - .address_space:  global
        .offset:         16
        .size:           8
        .value_kind:     global_buffer
      - .offset:         24
        .size:           4
        .value_kind:     by_value
    .group_segment_fixed_size: 4096
    .kernarg_segment_align: 8
    .kernarg_segment_size: 28
    .language:       OpenCL C
    .language_version:
      - 2
      - 0
    .max_flat_workgroup_size: 256
    .name:           _Z6kernelI27subtract_right_partial_tileLj256ELj32ELb1EJPdPiS1_jEEvDpT3_
    .private_segment_fixed_size: 0
    .sgpr_count:     18
    .sgpr_spill_count: 0
    .symbol:         _Z6kernelI27subtract_right_partial_tileLj256ELj32ELb1EJPdPiS1_jEEvDpT3_.kd
    .uniform_work_group_size: 1
    .uses_dynamic_stack: false
    .vgpr_count:     163
    .vgpr_spill_count: 0
    .wavefront_size: 32
    .workgroup_processor_mode: 1
amdhsa.target:   amdgcn-amd-amdhsa--gfx1100
amdhsa.version:
  - 1
  - 2
...

	.end_amdgpu_metadata
